;; amdgpu-corpus repo=ROCm/rocFFT kind=compiled arch=gfx1201 opt=O3
	.text
	.amdgcn_target "amdgcn-amd-amdhsa--gfx1201"
	.amdhsa_code_object_version 6
	.protected	bluestein_single_back_len544_dim1_dp_op_CI_CI ; -- Begin function bluestein_single_back_len544_dim1_dp_op_CI_CI
	.globl	bluestein_single_back_len544_dim1_dp_op_CI_CI
	.p2align	8
	.type	bluestein_single_back_len544_dim1_dp_op_CI_CI,@function
bluestein_single_back_len544_dim1_dp_op_CI_CI: ; @bluestein_single_back_len544_dim1_dp_op_CI_CI
; %bb.0:
	s_load_b128 s[8:11], s[0:1], 0x28
	v_mul_u32_u24_e32 v1, 0x788, v0
	s_mov_b32 s2, exec_lo
	s_delay_alu instid0(VALU_DEP_1) | instskip(NEXT) | instid1(VALU_DEP_1)
	v_lshrrev_b32_e32 v1, 16, v1
	v_mad_co_u64_u32 v[239:240], null, ttmp9, 3, v[1:2]
	v_mov_b32_e32 v240, 0
                                        ; kill: def $vgpr2 killed $sgpr0 killed $exec
	s_wait_kmcnt 0x0
	s_delay_alu instid0(VALU_DEP_1)
	v_cmpx_gt_u64_e64 s[8:9], v[239:240]
	s_cbranch_execz .LBB0_15
; %bb.1:
	v_mul_hi_u32 v2, 0xaaaaaaab, v239
	v_mul_lo_u16 v1, v1, 34
	s_clause 0x1
	s_load_b64 s[8:9], s[0:1], 0x0
	s_load_b64 s[12:13], s[0:1], 0x38
	s_delay_alu instid0(VALU_DEP_1) | instskip(NEXT) | instid1(VALU_DEP_3)
	v_sub_nc_u16 v0, v0, v1
	v_lshrrev_b32_e32 v1, 1, v2
	s_delay_alu instid0(VALU_DEP_2) | instskip(SKIP_1) | instid1(VALU_DEP_3)
	v_and_b32_e32 v255, 0xffff, v0
	v_cmp_gt_u16_e32 vcc_lo, 32, v0
	v_lshl_add_u32 v1, v1, 1, v1
	s_delay_alu instid0(VALU_DEP_3) | instskip(SKIP_1) | instid1(VALU_DEP_3)
	v_lshlrev_b32_e32 v173, 4, v255
	v_or_b32_e32 v250, 0xe0, v255
	v_sub_nc_u32_e32 v0, v239, v1
	v_or_b32_e32 v249, 0x100, v255
	v_or_b32_e32 v168, 0x140, v255
	s_delay_alu instid0(VALU_DEP_3) | instskip(NEXT) | instid1(VALU_DEP_1)
	v_mul_u32_u24_e32 v169, 0x220, v0
	v_or_b32_e32 v0, v169, v255
	s_delay_alu instid0(VALU_DEP_1)
	v_lshlrev_b32_e32 v240, 4, v0
	s_and_saveexec_b32 s3, vcc_lo
	s_cbranch_execz .LBB0_3
; %bb.2:
	s_load_b64 s[4:5], s[0:1], 0x18
	v_or_b32_e32 v25, 32, v255
	v_or_b32_e32 v26, 64, v255
	;; [unrolled: 1-line block ×13, first 2 shown]
	s_wait_kmcnt 0x0
	s_load_b128 s[4:7], s[4:5], 0x0
	s_clause 0x1
	global_load_b128 v[0:3], v173, s[8:9]
	global_load_b128 v[4:7], v173, s[8:9] offset:512
	s_wait_kmcnt 0x0
	v_mad_co_u64_u32 v[8:9], null, s6, v239, 0
	v_mad_co_u64_u32 v[10:11], null, s4, v255, 0
	;; [unrolled: 1-line block ×5, first 2 shown]
	s_delay_alu instid0(VALU_DEP_4) | instskip(NEXT) | instid1(VALU_DEP_4)
	v_mad_co_u64_u32 v[22:23], null, s7, v239, v[9:10]
	v_mad_co_u64_u32 v[23:24], null, s5, v255, v[11:12]
	;; [unrolled: 1-line block ×5, first 2 shown]
	v_mov_b32_e32 v9, v22
	v_mad_co_u64_u32 v[20:21], null, s4, v29, 0
	v_mov_b32_e32 v70, v73
	v_mad_co_u64_u32 v[25:26], null, s5, v26, v[15:16]
	s_delay_alu instid0(VALU_DEP_4)
	v_lshlrev_b64_e32 v[8:9], 4, v[8:9]
	v_mad_co_u64_u32 v[96:97], null, s4, v78, 0
	v_mov_b32_e32 v11, v23
	v_mad_co_u64_u32 v[26:27], null, s5, v27, v[17:18]
	v_mad_co_u64_u32 v[104:105], null, s4, v102, 0
	v_mov_b32_e32 v13, v24
	v_mad_co_u64_u32 v[27:28], null, s5, v28, v[19:20]
	v_mad_co_u64_u32 v[28:29], null, s5, v29, v[21:22]
	v_lshlrev_b64_e32 v[10:11], 4, v[10:11]
	v_mov_b32_e32 v15, v25
	v_add_co_u32 v122, s2, s10, v8
	v_lshlrev_b64_e32 v[12:13], 4, v[12:13]
	v_add_co_ci_u32_e64 v123, s2, s11, v9, s2
	v_mov_b32_e32 v17, v26
	v_mad_co_u64_u32 v[40:41], null, s4, v32, 0
	v_lshlrev_b64_e32 v[14:15], 4, v[14:15]
	v_add_co_u32 v8, s2, v122, v10
	v_mov_b32_e32 v21, v28
	s_wait_alu 0xf1ff
	v_add_co_ci_u32_e64 v9, s2, v123, v11, s2
	v_lshlrev_b64_e32 v[16:17], 4, v[16:17]
	v_add_co_u32 v10, s2, v122, v12
	s_wait_alu 0xf1ff
	v_add_co_ci_u32_e64 v11, s2, v123, v13, s2
	v_mad_co_u64_u32 v[64:65], null, s4, v249, 0
	v_mad_co_u64_u32 v[48:49], null, s4, v250, 0
	v_add_co_u32 v12, s2, v122, v14
	v_lshlrev_b64_e32 v[30:31], 4, v[20:21]
	s_delay_alu instid0(VALU_DEP_4)
	v_dual_mov_b32 v29, v41 :: v_dual_mov_b32 v52, v65
	v_mov_b32_e32 v19, v27
	s_wait_alu 0xf1ff
	v_add_co_ci_u32_e64 v13, s2, v123, v15, s2
	v_add_co_u32 v26, s2, v122, v16
	s_wait_alu 0xf1ff
	v_add_co_ci_u32_e64 v27, s2, v123, v17, s2
	v_lshlrev_b64_e32 v[24:25], 4, v[18:19]
	s_clause 0x3
	global_load_b128 v[20:23], v[8:9], off
	global_load_b128 v[16:19], v[10:11], off
	global_load_b128 v[12:15], v[12:13], off
	global_load_b128 v[8:11], v[26:27], off
	v_mad_co_u64_u32 v[26:27], null, s5, v32, v[29:30]
	v_mov_b32_e32 v27, v49
	v_mad_co_u64_u32 v[66:67], null, s4, v58, 0
	v_add_co_u32 v24, s2, v122, v24
	s_delay_alu instid0(VALU_DEP_3) | instskip(SKIP_4) | instid1(VALU_DEP_3)
	v_mad_co_u64_u32 v[42:43], null, s5, v250, v[27:28]
	v_mov_b32_e32 v41, v26
	s_wait_alu 0xf1ff
	v_add_co_ci_u32_e64 v25, s2, v123, v25, s2
	v_add_co_u32 v43, s2, v122, v30
	v_lshlrev_b64_e32 v[50:51], 4, v[40:41]
	v_mov_b32_e32 v49, v42
	v_mov_b32_e32 v53, v67
	s_wait_alu 0xf1ff
	v_add_co_ci_u32_e64 v44, s2, v123, v31, s2
	v_mad_co_u64_u32 v[98:99], null, s4, v90, 0
	v_lshlrev_b64_e32 v[48:49], 4, v[48:49]
	v_add_co_u32 v50, s2, v122, v50
	s_wait_alu 0xf1ff
	v_add_co_ci_u32_e64 v51, s2, v123, v51, s2
	v_mad_co_u64_u32 v[56:57], null, s5, v249, v[52:53]
	s_delay_alu instid0(VALU_DEP_4)
	v_add_co_u32 v54, s2, v122, v48
	s_wait_alu 0xf1ff
	v_add_co_ci_u32_e64 v55, s2, v123, v49, s2
	s_clause 0x1
	global_load_b128 v[36:39], v173, s[8:9] offset:1024
	global_load_b128 v[32:35], v173, s[8:9] offset:1536
	s_clause 0x1
	global_load_b128 v[28:31], v[24:25], off
	global_load_b128 v[24:27], v[43:44], off
	v_mad_co_u64_u32 v[67:68], null, s5, v58, v[53:54]
	v_mad_co_u64_u32 v[68:69], null, s4, v168, 0
	v_mov_b32_e32 v65, v56
	s_clause 0x1
	global_load_b128 v[40:43], v173, s[8:9] offset:2048
	global_load_b128 v[44:47], v173, s[8:9] offset:2560
	s_clause 0x1
	global_load_b128 v[48:51], v[50:51], off
	global_load_b128 v[52:55], v[54:55], off
	s_clause 0x1
	global_load_b128 v[56:59], v173, s[8:9] offset:3072
	global_load_b128 v[60:63], v173, s[8:9] offset:3584
	v_lshlrev_b64_e32 v[66:67], 4, v[66:67]
	v_lshlrev_b64_e32 v[64:65], 4, v[64:65]
	v_mad_co_u64_u32 v[73:74], null, s5, v168, v[69:70]
	v_mad_co_u64_u32 v[70:71], null, s5, v71, v[70:71]
	;; [unrolled: 1-line block ×3, first 2 shown]
	s_delay_alu instid0(VALU_DEP_4)
	v_add_co_u32 v64, s2, v122, v64
	s_wait_alu 0xf1ff
	v_add_co_ci_u32_e64 v65, s2, v123, v65, s2
	v_add_co_u32 v74, s2, v122, v66
	v_mov_b32_e32 v69, v73
	s_wait_alu 0xf1ff
	v_add_co_ci_u32_e64 v75, s2, v123, v67, s2
	v_mov_b32_e32 v73, v70
	v_mov_b32_e32 v101, v113
	v_lshlrev_b64_e32 v[76:77], 4, v[68:69]
	s_clause 0x1
	global_load_b128 v[64:67], v[64:65], off
	global_load_b128 v[68:71], v[74:75], off
	v_mov_b32_e32 v74, v97
	v_mad_co_u64_u32 v[116:117], null, s4, v108, 0
	v_lshlrev_b64_e32 v[72:73], 4, v[72:73]
	v_add_co_u32 v80, s2, v122, v76
	s_delay_alu instid0(VALU_DEP_4) | instskip(SKIP_4) | instid1(VALU_DEP_3)
	v_mad_co_u64_u32 v[88:89], null, s5, v78, v[74:75]
	v_mov_b32_e32 v89, v99
	s_wait_alu 0xf1ff
	v_add_co_ci_u32_e64 v81, s2, v123, v77, s2
	v_add_co_u32 v84, s2, v122, v72
	v_mad_co_u64_u32 v[99:100], null, s5, v90, v[89:90]
	v_dual_mov_b32 v100, v105 :: v_dual_mov_b32 v97, v88
	s_wait_alu 0xf1ff
	v_add_co_ci_u32_e64 v85, s2, v123, v73, s2
	s_clause 0x1
	global_load_b128 v[72:75], v173, s[8:9] offset:4096
	global_load_b128 v[76:79], v173, s[8:9] offset:4608
	v_mad_co_u64_u32 v[102:103], null, s5, v102, v[100:101]
	v_lshlrev_b64_e32 v[96:97], 4, v[96:97]
	v_lshlrev_b64_e32 v[98:99], 4, v[98:99]
	s_clause 0x1
	global_load_b128 v[80:83], v[80:81], off
	global_load_b128 v[84:87], v[84:85], off
	s_clause 0x1
	global_load_b128 v[88:91], v173, s[8:9] offset:5120
	global_load_b128 v[92:95], v173, s[8:9] offset:5632
	v_mad_co_u64_u32 v[100:101], null, s5, v106, v[101:102]
	v_mov_b32_e32 v101, v117
	v_mov_b32_e32 v105, v102
	v_add_co_u32 v96, s2, v122, v96
	s_wait_alu 0xf1ff
	v_add_co_ci_u32_e64 v97, s2, v123, v97, s2
	v_mad_co_u64_u32 v[114:115], null, s5, v108, v[101:102]
	v_mov_b32_e32 v113, v100
	v_lshlrev_b64_e32 v[118:119], 4, v[104:105]
	v_add_co_u32 v106, s2, v122, v98
	s_wait_alu 0xf1ff
	v_add_co_ci_u32_e64 v107, s2, v123, v99, s2
	v_mov_b32_e32 v117, v114
	v_lshlrev_b64_e32 v[120:121], 4, v[112:113]
	v_add_co_u32 v118, s2, v122, v118
	s_wait_alu 0xf1ff
	v_add_co_ci_u32_e64 v119, s2, v123, v119, s2
	v_lshlrev_b64_e32 v[116:117], 4, v[116:117]
	s_delay_alu instid0(VALU_DEP_4)
	v_add_co_u32 v120, s2, v122, v120
	s_wait_alu 0xf1ff
	v_add_co_ci_u32_e64 v121, s2, v123, v121, s2
	s_clause 0x1
	global_load_b128 v[96:99], v[96:97], off
	global_load_b128 v[100:103], v[106:107], off
	s_clause 0x1
	global_load_b128 v[104:107], v173, s[8:9] offset:6144
	global_load_b128 v[108:111], v173, s[8:9] offset:6656
	v_add_co_u32 v132, s2, v122, v116
	global_load_b128 v[112:115], v173, s[8:9] offset:7168
	s_wait_alu 0xf1ff
	v_add_co_ci_u32_e64 v133, s2, v123, v117, s2
	s_clause 0x1
	global_load_b128 v[116:119], v[118:119], off
	global_load_b128 v[120:123], v[120:121], off
	s_clause 0x1
	global_load_b128 v[124:127], v173, s[8:9] offset:7680
	global_load_b128 v[128:131], v173, s[8:9] offset:8192
	global_load_b128 v[132:135], v[132:133], off
	s_wait_loadcnt 0x1f
	v_mul_f64_e32 v[136:137], v[22:23], v[2:3]
	v_mul_f64_e32 v[2:3], v[20:21], v[2:3]
	s_wait_loadcnt 0x1e
	v_mul_f64_e32 v[138:139], v[18:19], v[6:7]
	v_mul_f64_e32 v[6:7], v[16:17], v[6:7]
	s_wait_loadcnt 0x1b
	v_mul_f64_e32 v[140:141], v[14:15], v[38:39]
	v_mul_f64_e32 v[38:39], v[12:13], v[38:39]
	s_wait_loadcnt 0x1a
	v_mul_f64_e32 v[142:143], v[10:11], v[34:35]
	v_mul_f64_e32 v[34:35], v[8:9], v[34:35]
	v_fma_f64 v[20:21], v[20:21], v[0:1], v[136:137]
	v_fma_f64 v[22:23], v[22:23], v[0:1], -v[2:3]
	v_fma_f64 v[0:1], v[16:17], v[4:5], v[138:139]
	s_wait_loadcnt 0x17
	v_mul_f64_e32 v[144:145], v[30:31], v[42:43]
	v_mul_f64_e32 v[42:43], v[28:29], v[42:43]
	s_wait_loadcnt 0x16
	v_mul_f64_e32 v[146:147], v[26:27], v[46:47]
	v_mul_f64_e32 v[46:47], v[24:25], v[46:47]
	;; [unrolled: 3-line block ×4, first 2 shown]
	v_fma_f64 v[2:3], v[18:19], v[4:5], -v[6:7]
	v_fma_f64 v[4:5], v[12:13], v[36:37], v[140:141]
	v_fma_f64 v[6:7], v[14:15], v[36:37], -v[38:39]
	v_fma_f64 v[8:9], v[8:9], v[32:33], v[142:143]
	;; [unrolled: 2-line block ×5, first 2 shown]
	s_wait_loadcnt 0xf
	v_mul_f64_e32 v[152:153], v[66:67], v[74:75]
	v_mul_f64_e32 v[74:75], v[64:65], v[74:75]
	s_wait_loadcnt 0xe
	v_mul_f64_e32 v[154:155], v[70:71], v[78:79]
	v_mul_f64_e32 v[78:79], v[68:69], v[78:79]
	v_fma_f64 v[26:27], v[50:51], v[56:57], -v[58:59]
	v_fma_f64 v[28:29], v[52:53], v[60:61], v[150:151]
	s_wait_loadcnt 0xb
	v_mul_f64_e32 v[156:157], v[82:83], v[90:91]
	v_mul_f64_e32 v[90:91], v[80:81], v[90:91]
	s_wait_loadcnt 0xa
	v_mul_f64_e32 v[158:159], v[86:87], v[94:95]
	v_mul_f64_e32 v[94:95], v[84:85], v[94:95]
	v_fma_f64 v[30:31], v[54:55], v[60:61], -v[62:63]
	s_wait_loadcnt 0x7
	v_mul_f64_e32 v[160:161], v[98:99], v[106:107]
	v_mul_f64_e32 v[106:107], v[96:97], v[106:107]
	s_wait_loadcnt 0x6
	v_mul_f64_e32 v[162:163], v[102:103], v[110:111]
	v_mul_f64_e32 v[110:111], v[100:101], v[110:111]
	;; [unrolled: 3-line block ×5, first 2 shown]
	v_fma_f64 v[32:33], v[64:65], v[72:73], v[152:153]
	v_fma_f64 v[34:35], v[66:67], v[72:73], -v[74:75]
	v_fma_f64 v[36:37], v[68:69], v[76:77], v[154:155]
	v_fma_f64 v[38:39], v[70:71], v[76:77], -v[78:79]
	;; [unrolled: 2-line block ×4, first 2 shown]
	v_lshl_add_u32 v68, v169, 4, v173
	v_fma_f64 v[48:49], v[96:97], v[104:105], v[160:161]
	v_fma_f64 v[50:51], v[98:99], v[104:105], -v[106:107]
	v_fma_f64 v[52:53], v[100:101], v[108:109], v[162:163]
	v_fma_f64 v[54:55], v[102:103], v[108:109], -v[110:111]
	;; [unrolled: 2-line block ×5, first 2 shown]
	ds_store_b128 v240, v[20:23]
	ds_store_b128 v68, v[0:3] offset:512
	ds_store_b128 v68, v[4:7] offset:1024
	;; [unrolled: 1-line block ×16, first 2 shown]
.LBB0_3:
	s_or_b32 exec_lo, exec_lo, s3
	s_clause 0x1
	s_load_b64 s[4:5], s[0:1], 0x20
	s_load_b64 s[2:3], s[0:1], 0x8
	v_lshlrev_b32_e32 v241, 4, v169
	global_wb scope:SCOPE_SE
	s_wait_dscnt 0x0
	s_wait_kmcnt 0x0
	s_barrier_signal -1
	s_barrier_wait -1
	global_inv scope:SCOPE_SE
                                        ; implicit-def: $vgpr4_vgpr5
                                        ; implicit-def: $vgpr48_vgpr49
                                        ; implicit-def: $vgpr36_vgpr37
                                        ; implicit-def: $vgpr12_vgpr13
                                        ; implicit-def: $vgpr8_vgpr9
                                        ; implicit-def: $vgpr16_vgpr17
                                        ; implicit-def: $vgpr20_vgpr21
                                        ; implicit-def: $vgpr24_vgpr25
                                        ; implicit-def: $vgpr28_vgpr29
                                        ; implicit-def: $vgpr32_vgpr33
                                        ; implicit-def: $vgpr40_vgpr41
                                        ; implicit-def: $vgpr44_vgpr45
                                        ; implicit-def: $vgpr52_vgpr53
                                        ; implicit-def: $vgpr56_vgpr57
                                        ; implicit-def: $vgpr60_vgpr61
                                        ; implicit-def: $vgpr64_vgpr65
                                        ; implicit-def: $vgpr68_vgpr69
	s_and_saveexec_b32 s0, vcc_lo
	s_cbranch_execz .LBB0_5
; %bb.4:
	v_lshl_add_u32 v0, v255, 4, v241
	ds_load_b128 v[4:7], v240
	ds_load_b128 v[68:71], v0 offset:512
	ds_load_b128 v[64:67], v0 offset:1024
	;; [unrolled: 1-line block ×16, first 2 shown]
.LBB0_5:
	s_wait_alu 0xfffe
	s_or_b32 exec_lo, exec_lo, s0
	s_wait_dscnt 0x0
	v_add_f64_e64 v[158:159], v[70:71], -v[10:11]
	v_add_f64_e64 v[162:163], v[68:69], -v[8:9]
	s_mov_b32 s0, 0x5d8e7cdc
	s_mov_b32 s1, 0xbfd71e95
	v_add_f64_e32 v[152:153], v[8:9], v[68:69]
	v_add_f64_e32 v[164:165], v[10:11], v[70:71]
	v_add_f64_e64 v[98:99], v[66:67], -v[14:15]
	v_add_f64_e64 v[72:73], v[64:65], -v[12:13]
	s_mov_b32 s6, 0x370991
	s_mov_b32 s14, 0x2a9d6da3
	s_mov_b32 s7, 0x3fedd6d0
	s_mov_b32 s15, 0xbfe58eea
	v_add_f64_e32 v[74:75], v[12:13], v[64:65]
	v_add_f64_e32 v[102:103], v[14:15], v[66:67]
	v_add_f64_e64 v[104:105], v[62:63], -v[18:19]
	v_add_f64_e64 v[76:77], v[60:61], -v[16:17]
	s_mov_b32 s18, 0x75d4884
	s_mov_b32 s10, 0x7c9e640b
	;; [unrolled: 8-line block ×4, first 2 shown]
	s_mov_b32 s23, 0x3fb79ee6
	s_mov_b32 s21, 0xbfeec746
	v_add_f64_e32 v[114:115], v[26:27], v[54:55]
	v_add_f64_e64 v[116:117], v[50:51], -v[30:31]
	s_wait_alu 0xfffe
	v_mul_f64_e32 v[160:161], s[0:1], v[158:159]
	v_mul_f64_e32 v[166:167], s[0:1], v[162:163]
	s_mov_b32 s24, 0xc61f0d01
	s_mov_b32 s34, 0x6c9a05f6
	;; [unrolled: 1-line block ×4, first 2 shown]
	v_mul_f64_e32 v[128:129], s[14:15], v[98:99]
	v_mul_f64_e32 v[130:131], s[14:15], v[72:73]
	v_add_f64_e32 v[118:119], v[50:51], v[30:31]
	v_add_f64_e64 v[120:121], v[46:47], -v[34:35]
	s_mov_b32 s30, 0x6ed5f1bb
	s_mov_b32 s28, 0x4363dd80
	;; [unrolled: 1-line block ×4, first 2 shown]
	v_mul_f64_e32 v[132:133], s[10:11], v[104:105]
	v_mul_f64_e32 v[134:135], s[10:11], v[76:77]
	v_add_f64_e32 v[122:123], v[34:35], v[46:47]
	v_add_f64_e64 v[124:125], v[42:43], -v[38:39]
	s_mov_b32 s36, 0x910ea3b9
	s_mov_b32 s40, 0xacd6c6b4
	;; [unrolled: 1-line block ×4, first 2 shown]
	v_mul_f64_e32 v[138:139], s[26:27], v[80:81]
	v_mul_f64_e32 v[136:137], s[26:27], v[108:109]
	s_mov_b32 s38, 0x7faef3
	s_mov_b32 s39, 0xbfef7484
	global_wb scope:SCOPE_SE
	s_barrier_signal -1
	s_barrier_wait -1
	global_inv scope:SCOPE_SE
	v_mul_f64_e32 v[142:143], s[20:21], v[84:85]
	v_mul_f64_e32 v[140:141], s[20:21], v[112:113]
	;; [unrolled: 1-line block ×3, first 2 shown]
	v_fma_f64 v[0:1], v[152:153], s[6:7], v[160:161]
	v_fma_f64 v[2:3], v[164:165], s[6:7], -v[166:167]
	v_fma_f64 v[86:87], v[74:75], s[18:19], v[128:129]
	v_fma_f64 v[88:89], v[102:103], s[18:19], -v[130:131]
	v_mul_f64_e32 v[148:149], s[28:29], v[120:121]
	v_fma_f64 v[90:91], v[78:79], s[16:17], v[132:133]
	v_fma_f64 v[92:93], v[106:107], s[16:17], -v[134:135]
	v_mul_f64_e32 v[154:155], s[40:41], v[124:125]
	v_fma_f64 v[96:97], v[110:111], s[22:23], -v[138:139]
	v_fma_f64 v[94:95], v[82:83], s[22:23], v[136:137]
	v_fma_f64 v[126:127], v[114:115], s[24:25], -v[142:143]
	v_add_f64_e32 v[0:1], v[4:5], v[0:1]
	v_add_f64_e32 v[2:3], v[6:7], v[2:3]
	s_delay_alu instid0(VALU_DEP_2) | instskip(NEXT) | instid1(VALU_DEP_2)
	v_add_f64_e32 v[0:1], v[86:87], v[0:1]
	v_add_f64_e32 v[2:3], v[88:89], v[2:3]
	;; [unrolled: 1-line block ×3, first 2 shown]
	v_add_f64_e64 v[88:89], v[48:49], -v[28:29]
	s_delay_alu instid0(VALU_DEP_4) | instskip(NEXT) | instid1(VALU_DEP_4)
	v_add_f64_e32 v[0:1], v[90:91], v[0:1]
	v_add_f64_e32 v[2:3], v[92:93], v[2:3]
	;; [unrolled: 1-line block ×3, first 2 shown]
	v_add_f64_e64 v[92:93], v[44:45], -v[32:33]
	v_mul_f64_e32 v[146:147], s[34:35], v[88:89]
	v_fma_f64 v[100:101], v[86:87], s[24:25], v[140:141]
	v_add_f64_e32 v[0:1], v[94:95], v[0:1]
	v_add_f64_e32 v[2:3], v[96:97], v[2:3]
	;; [unrolled: 1-line block ×3, first 2 shown]
	v_add_f64_e64 v[96:97], v[40:41], -v[36:37]
	v_mul_f64_e32 v[150:151], s[28:29], v[92:93]
	v_fma_f64 v[170:171], v[90:91], s[30:31], v[144:145]
	v_fma_f64 v[174:175], v[118:119], s[30:31], -v[146:147]
	v_add_f64_e32 v[0:1], v[100:101], v[0:1]
	v_add_f64_e32 v[2:3], v[126:127], v[2:3]
	;; [unrolled: 1-line block ×4, first 2 shown]
	v_mul_f64_e32 v[156:157], s[40:41], v[96:97]
	v_fma_f64 v[176:177], v[94:95], s[36:37], v[148:149]
	v_fma_f64 v[178:179], v[122:123], s[36:37], -v[150:151]
	v_add_f64_e32 v[0:1], v[170:171], v[0:1]
	v_add_f64_e32 v[2:3], v[174:175], v[2:3]
	v_fma_f64 v[170:171], v[100:101], s[38:39], v[154:155]
	v_fma_f64 v[174:175], v[126:127], s[38:39], -v[156:157]
	s_delay_alu instid0(VALU_DEP_4) | instskip(NEXT) | instid1(VALU_DEP_4)
	v_add_f64_e32 v[0:1], v[176:177], v[0:1]
	v_add_f64_e32 v[2:3], v[178:179], v[2:3]
	s_delay_alu instid0(VALU_DEP_2) | instskip(NEXT) | instid1(VALU_DEP_2)
	v_add_f64_e32 v[251:252], v[170:171], v[0:1]
	v_add_f64_e32 v[253:254], v[174:175], v[2:3]
	s_and_saveexec_b32 s33, vcc_lo
	s_cbranch_execz .LBB0_7
; %bb.6:
	v_add_f64_e32 v[0:1], v[6:7], v[70:71]
	v_add_f64_e32 v[2:3], v[4:5], v[68:69]
	s_mov_b32 s47, 0x3fe0d888
	s_mov_b32 s46, s28
	;; [unrolled: 1-line block ×16, first 2 shown]
	v_mul_f64_e32 v[180:181], s[48:49], v[124:125]
	v_mul_f64_e32 v[182:183], s[6:7], v[118:119]
	;; [unrolled: 1-line block ×20, first 2 shown]
	v_add_f64_e32 v[0:1], v[66:67], v[0:1]
	v_add_f64_e32 v[2:3], v[64:65], v[2:3]
	v_mul_f64_e32 v[66:67], s[6:7], v[152:153]
	v_mul_f64_e32 v[220:221], s[18:19], v[106:107]
	;; [unrolled: 1-line block ×10, first 2 shown]
	v_dual_mov_b32 v172, v239 :: v_dual_mov_b32 v245, v240
	v_mul_f64_e32 v[238:239], s[0:1], v[120:121]
	v_mov_b32_e32 v246, v241
	v_mul_f64_e32 v[240:241], s[30:31], v[126:127]
	v_mul_f64_e32 v[242:243], s[34:35], v[124:125]
	v_add_f64_e32 v[0:1], v[62:63], v[0:1]
	v_add_f64_e32 v[2:3], v[60:61], v[2:3]
	v_add_f64_e64 v[66:67], v[66:67], -v[160:161]
	s_delay_alu instid0(VALU_DEP_3) | instskip(NEXT) | instid1(VALU_DEP_3)
	v_add_f64_e32 v[0:1], v[58:59], v[0:1]
	v_add_f64_e32 v[2:3], v[56:57], v[2:3]
	s_delay_alu instid0(VALU_DEP_2) | instskip(NEXT) | instid1(VALU_DEP_2)
	v_add_f64_e32 v[0:1], v[54:55], v[0:1]
	v_add_f64_e32 v[2:3], v[52:53], v[2:3]
	s_delay_alu instid0(VALU_DEP_2) | instskip(NEXT) | instid1(VALU_DEP_2)
	v_add_f64_e32 v[0:1], v[50:51], v[0:1]
	v_add_f64_e32 v[2:3], v[48:49], v[2:3]
	v_mul_f64_e32 v[48:49], s[10:11], v[158:159]
	v_mul_f64_e32 v[50:51], s[14:15], v[158:159]
	s_delay_alu instid0(VALU_DEP_4) | instskip(NEXT) | instid1(VALU_DEP_4)
	v_add_f64_e32 v[0:1], v[46:47], v[0:1]
	v_add_f64_e32 v[2:3], v[44:45], v[2:3]
	v_mul_f64_e32 v[44:45], s[20:21], v[158:159]
	v_mul_f64_e32 v[46:47], s[26:27], v[158:159]
	v_fma_f64 v[62:63], v[152:153], s[16:17], v[48:49]
	v_fma_f64 v[48:49], v[152:153], s[16:17], -v[48:49]
	v_fma_f64 v[64:65], v[152:153], s[18:19], v[50:51]
	v_fma_f64 v[50:51], v[152:153], s[18:19], -v[50:51]
	v_add_f64_e32 v[0:1], v[42:43], v[0:1]
	v_add_f64_e32 v[2:3], v[40:41], v[2:3]
	v_mul_f64_e32 v[40:41], s[28:29], v[158:159]
	v_mul_f64_e32 v[42:43], s[34:35], v[158:159]
	v_fma_f64 v[58:59], v[152:153], s[24:25], v[44:45]
	v_fma_f64 v[44:45], v[152:153], s[24:25], -v[44:45]
	v_fma_f64 v[60:61], v[152:153], s[22:23], v[46:47]
	v_fma_f64 v[46:47], v[152:153], s[22:23], -v[46:47]
	v_add_f64_e32 v[62:63], v[4:5], v[62:63]
	v_add_f64_e32 v[48:49], v[4:5], v[48:49]
	v_add_f64_e32 v[0:1], v[38:39], v[0:1]
	v_add_f64_e32 v[2:3], v[36:37], v[2:3]
	v_mul_f64_e32 v[38:39], s[40:41], v[158:159]
	v_fma_f64 v[54:55], v[152:153], s[36:37], v[40:41]
	v_fma_f64 v[40:41], v[152:153], s[36:37], -v[40:41]
	v_fma_f64 v[56:57], v[152:153], s[30:31], v[42:43]
	v_fma_f64 v[42:43], v[152:153], s[30:31], -v[42:43]
	v_mul_f64_e32 v[36:37], s[6:7], v[164:165]
	v_add_f64_e32 v[58:59], v[4:5], v[58:59]
	v_add_f64_e32 v[44:45], v[4:5], v[44:45]
	;; [unrolled: 1-line block ×6, first 2 shown]
	v_mul_f64_e32 v[32:33], s[18:19], v[164:165]
	v_fma_f64 v[52:53], v[152:153], s[38:39], v[38:39]
	v_fma_f64 v[38:39], v[152:153], s[38:39], -v[38:39]
	v_add_f64_e32 v[54:55], v[4:5], v[54:55]
	v_add_f64_e32 v[40:41], v[4:5], v[40:41]
	;; [unrolled: 1-line block ×6, first 2 shown]
	v_mul_f64_e32 v[28:29], s[16:17], v[164:165]
	v_fma_f64 v[34:35], v[162:163], s[54:55], v[32:33]
	v_fma_f64 v[32:33], v[162:163], s[14:15], v[32:33]
	v_add_f64_e32 v[52:53], v[4:5], v[52:53]
	v_add_f64_e32 v[38:39], v[4:5], v[38:39]
	;; [unrolled: 1-line block ×4, first 2 shown]
	v_mul_f64_e32 v[24:25], s[22:23], v[164:165]
	v_fma_f64 v[30:31], v[162:163], s[50:51], v[28:29]
	v_fma_f64 v[28:29], v[162:163], s[10:11], v[28:29]
	v_add_f64_e32 v[0:1], v[22:23], v[0:1]
	v_add_f64_e32 v[2:3], v[20:21], v[2:3]
	v_mul_f64_e32 v[20:21], s[24:25], v[164:165]
	v_fma_f64 v[26:27], v[162:163], s[48:49], v[24:25]
	v_fma_f64 v[24:25], v[162:163], s[26:27], v[24:25]
	v_add_f64_e32 v[176:177], v[6:7], v[30:31]
	v_add_f64_e32 v[30:31], v[4:5], v[50:51]
	;; [unrolled: 1-line block ×6, first 2 shown]
	v_mul_f64_e32 v[16:17], s[30:31], v[164:165]
	v_fma_f64 v[22:23], v[162:163], s[56:57], v[20:21]
	v_fma_f64 v[20:21], v[162:163], s[20:21], v[20:21]
	v_add_f64_e32 v[170:171], v[6:7], v[26:27]
	v_add_f64_e32 v[26:27], v[4:5], v[66:67]
	;; [unrolled: 1-line block ×6, first 2 shown]
	v_mul_f64_e32 v[12:13], s[36:37], v[164:165]
	v_fma_f64 v[18:19], v[162:163], s[44:45], v[16:17]
	v_fma_f64 v[16:17], v[162:163], s[34:35], v[16:17]
	v_add_f64_e32 v[166:167], v[6:7], v[22:23]
	v_add_f64_e32 v[10:11], v[10:11], v[0:1]
	v_mul_f64_e32 v[0:1], s[38:39], v[164:165]
	v_fma_f64 v[14:15], v[162:163], s[46:47], v[12:13]
	v_fma_f64 v[12:13], v[162:163], s[28:29], v[12:13]
	v_add_f64_e32 v[8:9], v[8:9], v[2:3]
	v_add_f64_e32 v[164:165], v[4:5], v[42:43]
	v_add_f64_e32 v[160:161], v[6:7], v[18:19]
	v_add_f64_e32 v[42:43], v[6:7], v[20:21]
	v_fma_f64 v[2:3], v[162:163], s[42:43], v[0:1]
	v_fma_f64 v[0:1], v[162:163], s[40:41], v[0:1]
	v_add_f64_e32 v[158:159], v[6:7], v[12:13]
	v_mul_f64_e32 v[12:13], s[6:7], v[102:103]
	v_add_f64_e32 v[162:163], v[6:7], v[16:17]
	v_mul_f64_e32 v[16:17], s[36:37], v[106:107]
	v_add_f64_e32 v[152:153], v[6:7], v[14:15]
	v_mul_f64_e32 v[14:15], s[52:53], v[98:99]
	v_add_f64_e32 v[68:69], v[6:7], v[2:3]
	v_add_f64_e32 v[70:71], v[6:7], v[0:1]
	;; [unrolled: 1-line block ×3, first 2 shown]
	v_fma_f64 v[4:5], v[72:73], s[0:1], v[12:13]
	v_add_f64_e32 v[2:3], v[6:7], v[34:35]
	v_fma_f64 v[18:19], v[76:77], s[46:47], v[16:17]
	v_fma_f64 v[12:13], v[72:73], s[52:53], v[12:13]
	;; [unrolled: 1-line block ×3, first 2 shown]
	v_fma_f64 v[14:15], v[74:75], s[6:7], -v[14:15]
	v_fma_f64 v[16:17], v[76:77], s[28:29], v[16:17]
	v_add_f64_e32 v[4:5], v[4:5], v[68:69]
	v_mul_f64_e32 v[68:69], s[22:23], v[126:127]
	v_add_f64_e32 v[12:13], v[12:13], v[70:71]
	v_add_f64_e32 v[6:7], v[6:7], v[52:53]
	;; [unrolled: 1-line block ×4, first 2 shown]
	v_mul_f64_e32 v[18:19], s[28:29], v[104:105]
	v_add_f64_e32 v[12:13], v[16:17], v[12:13]
	s_delay_alu instid0(VALU_DEP_2) | instskip(SKIP_2) | instid1(VALU_DEP_3)
	v_fma_f64 v[20:21], v[78:79], s[36:37], v[18:19]
	v_fma_f64 v[16:17], v[78:79], s[36:37], -v[18:19]
	v_fma_f64 v[18:19], v[100:101], s[22:23], -v[180:181]
	v_add_f64_e32 v[6:7], v[20:21], v[6:7]
	v_mul_f64_e32 v[20:21], s[18:19], v[110:111]
	s_delay_alu instid0(VALU_DEP_4) | instskip(NEXT) | instid1(VALU_DEP_2)
	v_add_f64_e32 v[14:15], v[16:17], v[14:15]
	v_fma_f64 v[22:23], v[80:81], s[14:15], v[20:21]
	v_fma_f64 v[16:17], v[80:81], s[54:55], v[20:21]
	v_mul_f64_e32 v[20:21], s[16:17], v[102:103]
	s_delay_alu instid0(VALU_DEP_3) | instskip(SKIP_1) | instid1(VALU_DEP_4)
	v_add_f64_e32 v[4:5], v[22:23], v[4:5]
	v_mul_f64_e32 v[22:23], s[54:55], v[108:109]
	v_add_f64_e32 v[12:13], v[16:17], v[12:13]
	s_delay_alu instid0(VALU_DEP_2) | instskip(SKIP_2) | instid1(VALU_DEP_3)
	v_fma_f64 v[32:33], v[82:83], s[18:19], v[22:23]
	v_fma_f64 v[16:17], v[82:83], s[18:19], -v[22:23]
	v_mul_f64_e32 v[22:23], s[50:51], v[98:99]
	v_add_f64_e32 v[6:7], v[32:33], v[6:7]
	v_mul_f64_e32 v[32:33], s[30:31], v[114:115]
	s_delay_alu instid0(VALU_DEP_4) | instskip(NEXT) | instid1(VALU_DEP_2)
	v_add_f64_e32 v[14:15], v[16:17], v[14:15]
	v_fma_f64 v[34:35], v[84:85], s[44:45], v[32:33]
	v_fma_f64 v[16:17], v[84:85], s[34:35], v[32:33]
	v_mul_f64_e32 v[32:33], s[22:23], v[106:107]
	s_delay_alu instid0(VALU_DEP_3) | instskip(SKIP_1) | instid1(VALU_DEP_4)
	v_add_f64_e32 v[4:5], v[34:35], v[4:5]
	v_mul_f64_e32 v[34:35], s[34:35], v[112:113]
	v_add_f64_e32 v[12:13], v[16:17], v[12:13]
	s_delay_alu instid0(VALU_DEP_2) | instskip(SKIP_3) | instid1(VALU_DEP_4)
	v_fma_f64 v[36:37], v[86:87], s[30:31], v[34:35]
	v_fma_f64 v[16:17], v[86:87], s[30:31], -v[34:35]
	v_fma_f64 v[34:35], v[76:77], s[48:49], v[32:33]
	v_fma_f64 v[32:33], v[76:77], s[26:27], v[32:33]
	v_add_f64_e32 v[6:7], v[36:37], v[6:7]
	v_mul_f64_e32 v[36:37], s[16:17], v[118:119]
	v_add_f64_e32 v[14:15], v[16:17], v[14:15]
	s_delay_alu instid0(VALU_DEP_2) | instskip(SKIP_1) | instid1(VALU_DEP_2)
	v_fma_f64 v[50:51], v[88:89], s[10:11], v[36:37]
	v_fma_f64 v[16:17], v[88:89], s[50:51], v[36:37]
	v_add_f64_e32 v[4:5], v[50:51], v[4:5]
	v_mul_f64_e32 v[50:51], s[50:51], v[116:117]
	s_delay_alu instid0(VALU_DEP_3) | instskip(NEXT) | instid1(VALU_DEP_2)
	v_add_f64_e32 v[12:13], v[16:17], v[12:13]
	v_fma_f64 v[52:53], v[90:91], s[16:17], v[50:51]
	v_fma_f64 v[16:17], v[90:91], s[16:17], -v[50:51]
	s_delay_alu instid0(VALU_DEP_2) | instskip(SKIP_1) | instid1(VALU_DEP_3)
	v_add_f64_e32 v[6:7], v[52:53], v[6:7]
	v_mul_f64_e32 v[52:53], s[24:25], v[122:123]
	v_add_f64_e32 v[14:15], v[16:17], v[14:15]
	s_delay_alu instid0(VALU_DEP_2) | instskip(SKIP_1) | instid1(VALU_DEP_2)
	v_fma_f64 v[64:65], v[92:93], s[56:57], v[52:53]
	v_fma_f64 v[16:17], v[92:93], s[20:21], v[52:53]
	v_add_f64_e32 v[4:5], v[64:65], v[4:5]
	v_mul_f64_e32 v[64:65], s[20:21], v[120:121]
	s_delay_alu instid0(VALU_DEP_3) | instskip(NEXT) | instid1(VALU_DEP_2)
	v_add_f64_e32 v[12:13], v[16:17], v[12:13]
	v_fma_f64 v[16:17], v[94:95], s[24:25], -v[64:65]
	v_fma_f64 v[66:67], v[94:95], s[24:25], v[64:65]
	s_delay_alu instid0(VALU_DEP_2) | instskip(SKIP_1) | instid1(VALU_DEP_3)
	v_add_f64_e32 v[16:17], v[16:17], v[14:15]
	v_fma_f64 v[14:15], v[96:97], s[48:49], v[68:69]
	v_add_f64_e32 v[66:67], v[66:67], v[6:7]
	v_fma_f64 v[6:7], v[96:97], s[26:27], v[68:69]
	s_delay_alu instid0(VALU_DEP_3)
	v_add_f64_e32 v[14:15], v[14:15], v[12:13]
	v_add_f64_e32 v[12:13], v[18:19], v[16:17]
	v_fma_f64 v[16:17], v[72:73], s[10:11], v[20:21]
	v_fma_f64 v[18:19], v[74:75], s[16:17], v[22:23]
	;; [unrolled: 1-line block ×3, first 2 shown]
	v_fma_f64 v[22:23], v[74:75], s[16:17], -v[22:23]
	v_add_f64_e32 v[6:7], v[6:7], v[4:5]
	v_fma_f64 v[4:5], v[100:101], s[22:23], v[180:181]
	v_mul_f64_e32 v[180:181], s[20:21], v[124:125]
	v_add_f64_e32 v[16:17], v[16:17], v[152:153]
	v_add_f64_e32 v[18:19], v[18:19], v[54:55]
	;; [unrolled: 1-line block ×4, first 2 shown]
	v_mul_f64_e32 v[152:153], s[24:25], v[126:127]
	v_add_f64_e32 v[4:5], v[4:5], v[66:67]
	v_mul_f64_e32 v[40:41], s[22:23], v[110:111]
	v_mul_f64_e32 v[158:159], s[56:57], v[108:109]
	v_add_f64_e32 v[16:17], v[34:35], v[16:17]
	v_mul_f64_e32 v[34:35], s[26:27], v[104:105]
	v_add_f64_e32 v[20:21], v[32:33], v[20:21]
	v_add_f64_e32 v[40:41], v[138:139], v[40:41]
	v_mul_f64_e32 v[138:139], s[56:57], v[116:117]
	s_delay_alu instid0(VALU_DEP_4) | instskip(SKIP_2) | instid1(VALU_DEP_3)
	v_fma_f64 v[36:37], v[78:79], s[22:23], v[34:35]
	v_fma_f64 v[32:33], v[78:79], s[22:23], -v[34:35]
	v_fma_f64 v[34:35], v[100:101], s[24:25], -v[180:181]
	v_add_f64_e32 v[18:19], v[36:37], v[18:19]
	v_mul_f64_e32 v[36:37], s[30:31], v[110:111]
	s_delay_alu instid0(VALU_DEP_4) | instskip(NEXT) | instid1(VALU_DEP_2)
	v_add_f64_e32 v[22:23], v[32:33], v[22:23]
	v_fma_f64 v[38:39], v[80:81], s[34:35], v[36:37]
	v_fma_f64 v[32:33], v[80:81], s[44:45], v[36:37]
	v_mul_f64_e32 v[36:37], s[16:17], v[106:107]
	s_delay_alu instid0(VALU_DEP_3) | instskip(SKIP_1) | instid1(VALU_DEP_4)
	v_add_f64_e32 v[16:17], v[38:39], v[16:17]
	v_mul_f64_e32 v[38:39], s[44:45], v[108:109]
	v_add_f64_e32 v[20:21], v[32:33], v[20:21]
	s_delay_alu instid0(VALU_DEP_4) | instskip(SKIP_1) | instid1(VALU_DEP_4)
	v_add_f64_e32 v[36:37], v[134:135], v[36:37]
	v_mul_f64_e32 v[134:135], s[46:47], v[112:113]
	v_fma_f64 v[50:51], v[82:83], s[30:31], v[38:39]
	v_fma_f64 v[32:33], v[82:83], s[30:31], -v[38:39]
	v_mul_f64_e32 v[38:39], s[16:17], v[78:79]
	s_delay_alu instid0(VALU_DEP_3) | instskip(SKIP_1) | instid1(VALU_DEP_4)
	v_add_f64_e32 v[18:19], v[50:51], v[18:19]
	v_mul_f64_e32 v[50:51], s[6:7], v[114:115]
	v_add_f64_e32 v[22:23], v[32:33], v[22:23]
	s_delay_alu instid0(VALU_DEP_4) | instskip(SKIP_1) | instid1(VALU_DEP_4)
	v_add_f64_e64 v[38:39], v[38:39], -v[132:133]
	v_mul_f64_e32 v[132:133], s[36:37], v[114:115]
	v_fma_f64 v[52:53], v[84:85], s[52:53], v[50:51]
	v_fma_f64 v[32:33], v[84:85], s[0:1], v[50:51]
	v_mul_f64_e32 v[50:51], s[22:23], v[82:83]
	s_delay_alu instid0(VALU_DEP_3) | instskip(SKIP_1) | instid1(VALU_DEP_4)
	v_add_f64_e32 v[16:17], v[52:53], v[16:17]
	v_mul_f64_e32 v[52:53], s[0:1], v[112:113]
	v_add_f64_e32 v[20:21], v[32:33], v[20:21]
	s_delay_alu instid0(VALU_DEP_4) | instskip(SKIP_1) | instid1(VALU_DEP_4)
	v_add_f64_e64 v[50:51], v[50:51], -v[136:137]
	v_mul_f64_e32 v[136:137], s[24:25], v[118:119]
	v_fma_f64 v[54:55], v[86:87], s[6:7], v[52:53]
	v_fma_f64 v[32:33], v[86:87], s[6:7], -v[52:53]
	v_mul_f64_e32 v[52:53], s[24:25], v[114:115]
	s_delay_alu instid0(VALU_DEP_3) | instskip(SKIP_1) | instid1(VALU_DEP_4)
	v_add_f64_e32 v[18:19], v[54:55], v[18:19]
	v_mul_f64_e32 v[54:55], s[38:39], v[118:119]
	v_add_f64_e32 v[22:23], v[32:33], v[22:23]
	s_delay_alu instid0(VALU_DEP_4) | instskip(SKIP_1) | instid1(VALU_DEP_4)
	v_add_f64_e32 v[52:53], v[142:143], v[52:53]
	v_mul_f64_e32 v[142:143], s[50:51], v[120:121]
	v_fma_f64 v[64:65], v[88:89], s[42:43], v[54:55]
	v_fma_f64 v[32:33], v[88:89], s[40:41], v[54:55]
	v_mul_f64_e32 v[54:55], s[24:25], v[86:87]
	s_delay_alu instid0(VALU_DEP_3) | instskip(SKIP_1) | instid1(VALU_DEP_4)
	v_add_f64_e32 v[16:17], v[64:65], v[16:17]
	v_mul_f64_e32 v[64:65], s[40:41], v[116:117]
	v_add_f64_e32 v[20:21], v[32:33], v[20:21]
	s_delay_alu instid0(VALU_DEP_4) | instskip(SKIP_1) | instid1(VALU_DEP_4)
	v_add_f64_e64 v[54:55], v[54:55], -v[140:141]
	v_mul_f64_e32 v[140:141], s[16:17], v[122:123]
	v_fma_f64 v[66:67], v[90:91], s[38:39], v[64:65]
	v_fma_f64 v[32:33], v[90:91], s[38:39], -v[64:65]
	v_mul_f64_e32 v[64:65], s[30:31], v[118:119]
	s_delay_alu instid0(VALU_DEP_3) | instskip(SKIP_1) | instid1(VALU_DEP_4)
	v_add_f64_e32 v[18:19], v[66:67], v[18:19]
	v_mul_f64_e32 v[66:67], s[18:19], v[122:123]
	v_add_f64_e32 v[22:23], v[32:33], v[22:23]
	s_delay_alu instid0(VALU_DEP_4)
	v_add_f64_e32 v[64:65], v[146:147], v[64:65]
	v_mul_f64_e32 v[146:147], s[52:53], v[124:125]
	v_mul_f64_e32 v[124:125], s[50:51], v[124:125]
	v_fma_f64 v[68:69], v[92:93], s[14:15], v[66:67]
	v_fma_f64 v[32:33], v[92:93], s[54:55], v[66:67]
	v_mul_f64_e32 v[66:67], s[26:27], v[98:99]
	s_delay_alu instid0(VALU_DEP_3) | instskip(SKIP_1) | instid1(VALU_DEP_4)
	v_add_f64_e32 v[16:17], v[68:69], v[16:17]
	v_mul_f64_e32 v[68:69], s[54:55], v[120:121]
	v_add_f64_e32 v[20:21], v[32:33], v[20:21]
	s_delay_alu instid0(VALU_DEP_2) | instskip(SKIP_2) | instid1(VALU_DEP_3)
	v_fma_f64 v[32:33], v[94:95], s[18:19], -v[68:69]
	v_fma_f64 v[70:71], v[94:95], s[18:19], v[68:69]
	v_mul_f64_e32 v[68:69], s[30:31], v[106:107]
	v_add_f64_e32 v[32:33], v[32:33], v[22:23]
	v_fma_f64 v[22:23], v[96:97], s[20:21], v[152:153]
	s_delay_alu instid0(VALU_DEP_4) | instskip(SKIP_2) | instid1(VALU_DEP_4)
	v_add_f64_e32 v[70:71], v[70:71], v[18:19]
	v_fma_f64 v[18:19], v[96:97], s[56:57], v[152:153]
	v_mul_f64_e32 v[152:153], s[38:39], v[106:107]
	v_add_f64_e32 v[22:23], v[22:23], v[20:21]
	v_add_f64_e32 v[20:21], v[34:35], v[32:33]
	v_mul_f64_e32 v[32:33], s[18:19], v[102:103]
	v_mul_f64_e32 v[34:35], s[18:19], v[74:75]
	v_add_f64_e32 v[18:19], v[18:19], v[16:17]
	v_fma_f64 v[16:17], v[100:101], s[24:25], v[180:181]
	v_mul_f64_e32 v[180:181], s[54:55], v[112:113]
	v_add_f64_e32 v[32:33], v[130:131], v[32:33]
	v_add_f64_e64 v[34:35], v[34:35], -v[128:129]
	v_mul_f64_e32 v[128:129], s[38:39], v[110:111]
	v_add_f64_e32 v[16:17], v[16:17], v[70:71]
	v_mul_f64_e32 v[70:71], s[34:35], v[104:105]
	v_mul_f64_e32 v[130:131], s[40:41], v[108:109]
	v_add_f64_e32 v[24:25], v[32:33], v[24:25]
	v_add_f64_e32 v[26:27], v[34:35], v[26:27]
	v_mul_f64_e32 v[32:33], s[30:31], v[90:91]
	v_mul_f64_e32 v[34:35], s[36:37], v[122:123]
	s_delay_alu instid0(VALU_DEP_4) | instskip(NEXT) | instid1(VALU_DEP_4)
	v_add_f64_e32 v[24:25], v[36:37], v[24:25]
	v_add_f64_e32 v[26:27], v[38:39], v[26:27]
	s_delay_alu instid0(VALU_DEP_4)
	v_add_f64_e64 v[32:33], v[32:33], -v[144:145]
	v_mul_f64_e32 v[36:37], s[36:37], v[94:95]
	v_add_f64_e32 v[34:35], v[150:151], v[34:35]
	v_mul_f64_e32 v[38:39], s[38:39], v[126:127]
	v_mul_f64_e32 v[144:145], s[6:7], v[126:127]
	;; [unrolled: 1-line block ×3, first 2 shown]
	v_add_f64_e32 v[24:25], v[40:41], v[24:25]
	v_add_f64_e32 v[26:27], v[50:51], v[26:27]
	v_fma_f64 v[40:41], v[76:77], s[56:57], v[196:197]
	v_add_f64_e64 v[36:37], v[36:37], -v[148:149]
	v_mul_f64_e32 v[148:149], s[30:31], v[102:103]
	v_add_f64_e32 v[38:39], v[156:157], v[38:39]
	v_mul_f64_e32 v[156:157], s[24:25], v[110:111]
	v_mul_f64_e32 v[50:51], s[56:57], v[98:99]
	v_add_f64_e32 v[24:25], v[52:53], v[24:25]
	v_add_f64_e32 v[26:27], v[54:55], v[26:27]
	v_mul_f64_e32 v[52:53], s[36:37], v[102:103]
	v_mul_f64_e32 v[54:55], s[46:47], v[98:99]
	s_delay_alu instid0(VALU_DEP_4) | instskip(NEXT) | instid1(VALU_DEP_4)
	v_add_f64_e32 v[24:25], v[64:65], v[24:25]
	v_add_f64_e32 v[26:27], v[32:33], v[26:27]
	v_mul_f64_e32 v[32:33], s[38:39], v[100:101]
	v_mul_f64_e32 v[64:65], s[22:23], v[102:103]
	s_delay_alu instid0(VALU_DEP_4) | instskip(NEXT) | instid1(VALU_DEP_4)
	v_add_f64_e32 v[24:25], v[34:35], v[24:25]
	v_add_f64_e32 v[34:35], v[36:37], v[26:27]
	s_delay_alu instid0(VALU_DEP_4) | instskip(SKIP_3) | instid1(VALU_DEP_4)
	v_add_f64_e64 v[32:33], v[32:33], -v[154:155]
	v_fma_f64 v[36:37], v[76:77], s[42:43], v[152:153]
	v_mul_f64_e32 v[154:155], s[42:43], v[104:105]
	v_add_f64_e32 v[26:27], v[38:39], v[24:25]
	v_add_f64_e32 v[24:25], v[32:33], v[34:35]
	v_fma_f64 v[32:33], v[72:73], s[26:27], v[64:65]
	v_fma_f64 v[34:35], v[74:75], s[30:31], -v[150:151]
	v_fma_f64 v[64:65], v[72:73], s[48:49], v[64:65]
	s_delay_alu instid0(VALU_DEP_3) | instskip(SKIP_1) | instid1(VALU_DEP_4)
	v_add_f64_e32 v[28:29], v[32:33], v[28:29]
	v_fma_f64 v[32:33], v[74:75], s[22:23], -v[66:67]
	v_add_f64_e32 v[34:35], v[34:35], v[48:49]
	v_mul_f64_e32 v[48:49], s[24:25], v[102:103]
	v_fma_f64 v[66:67], v[74:75], s[22:23], v[66:67]
	v_add_f64_e32 v[2:3], v[64:65], v[2:3]
	v_fma_f64 v[64:65], v[78:79], s[30:31], v[70:71]
	v_add_f64_e32 v[30:31], v[32:33], v[30:31]
	v_fma_f64 v[32:33], v[76:77], s[34:35], v[68:69]
	v_fma_f64 v[68:69], v[76:77], s[44:45], v[68:69]
	v_add_f64_e32 v[0:1], v[66:67], v[0:1]
	v_fma_f64 v[66:67], v[80:81], s[42:43], v[128:129]
	s_delay_alu instid0(VALU_DEP_4)
	v_add_f64_e32 v[28:29], v[32:33], v[28:29]
	v_fma_f64 v[32:33], v[78:79], s[30:31], -v[70:71]
	v_add_f64_e32 v[2:3], v[68:69], v[2:3]
	v_fma_f64 v[68:69], v[82:83], s[38:39], v[130:131]
	v_add_f64_e32 v[0:1], v[64:65], v[0:1]
	v_fma_f64 v[64:65], v[84:85], s[28:29], v[132:133]
	;; [unrolled: 2-line block ×5, first 2 shown]
	v_add_f64_e32 v[28:29], v[32:33], v[28:29]
	v_fma_f64 v[32:33], v[82:83], s[38:39], -v[130:131]
	v_add_f64_e32 v[2:3], v[64:65], v[2:3]
	v_fma_f64 v[64:65], v[90:91], s[24:25], v[138:139]
	v_add_f64_e32 v[0:1], v[66:67], v[0:1]
	v_fma_f64 v[66:67], v[92:93], s[10:11], v[140:141]
	;; [unrolled: 2-line block ×5, first 2 shown]
	v_add_f64_e32 v[28:29], v[32:33], v[28:29]
	v_fma_f64 v[32:33], v[86:87], s[36:37], -v[134:135]
	v_add_f64_e32 v[2:3], v[66:67], v[2:3]
	v_fma_f64 v[66:67], v[100:101], s[6:7], v[146:147]
	v_add_f64_e32 v[0:1], v[68:69], v[0:1]
	s_delay_alu instid0(VALU_DEP_4) | instskip(SKIP_2) | instid1(VALU_DEP_4)
	v_add_f64_e32 v[30:31], v[32:33], v[30:31]
	v_fma_f64 v[32:33], v[88:89], s[56:57], v[136:137]
	v_add_f64_e32 v[2:3], v[64:65], v[2:3]
	v_add_f64_e32 v[0:1], v[66:67], v[0:1]
	v_mul_lo_u16 v64, v255, 17
	s_delay_alu instid0(VALU_DEP_1) | instskip(NEXT) | instid1(VALU_DEP_1)
	v_and_b32_e32 v64, 0xffff, v64
	v_add_lshl_u32 v64, v169, v64, 4
	v_add_f64_e32 v[28:29], v[32:33], v[28:29]
	v_fma_f64 v[32:33], v[90:91], s[24:25], -v[138:139]
	s_delay_alu instid0(VALU_DEP_1) | instskip(SKIP_1) | instid1(VALU_DEP_1)
	v_add_f64_e32 v[30:31], v[32:33], v[30:31]
	v_fma_f64 v[32:33], v[92:93], s[50:51], v[140:141]
	v_add_f64_e32 v[28:29], v[32:33], v[28:29]
	v_fma_f64 v[32:33], v[94:95], s[16:17], -v[142:143]
	s_delay_alu instid0(VALU_DEP_1) | instskip(SKIP_1) | instid1(VALU_DEP_1)
	v_add_f64_e32 v[32:33], v[32:33], v[30:31]
	v_fma_f64 v[30:31], v[96:97], s[52:53], v[144:145]
	;; [unrolled: 5-line block ×3, first 2 shown]
	v_add_f64_e32 v[32:33], v[32:33], v[178:179]
	v_mul_f64_e32 v[178:179], s[18:19], v[114:115]
	s_delay_alu instid0(VALU_DEP_2) | instskip(SKIP_1) | instid1(VALU_DEP_1)
	v_add_f64_e32 v[32:33], v[36:37], v[32:33]
	v_fma_f64 v[36:37], v[78:79], s[38:39], -v[154:155]
	v_add_f64_e32 v[34:35], v[36:37], v[34:35]
	v_fma_f64 v[36:37], v[80:81], s[56:57], v[156:157]
	s_delay_alu instid0(VALU_DEP_1) | instskip(SKIP_1) | instid1(VALU_DEP_1)
	v_add_f64_e32 v[32:33], v[36:37], v[32:33]
	v_fma_f64 v[36:37], v[82:83], s[24:25], -v[158:159]
	v_add_f64_e32 v[34:35], v[36:37], v[34:35]
	v_fma_f64 v[36:37], v[84:85], s[54:55], v[178:179]
	s_delay_alu instid0(VALU_DEP_1) | instskip(SKIP_1) | instid1(VALU_DEP_1)
	;; [unrolled: 5-line block ×5, first 2 shown]
	v_add_f64_e32 v[34:35], v[34:35], v[32:33]
	v_fma_f64 v[32:33], v[100:101], s[36:37], -v[192:193]
	v_add_f64_e32 v[32:33], v[32:33], v[36:37]
	v_fma_f64 v[36:37], v[72:73], s[40:41], v[194:195]
	s_delay_alu instid0(VALU_DEP_1) | instskip(SKIP_2) | instid1(VALU_DEP_3)
	v_add_f64_e32 v[36:37], v[36:37], v[174:175]
	v_mul_f64_e32 v[174:175], s[40:41], v[98:99]
	v_mul_f64_e32 v[98:99], s[6:7], v[106:107]
	v_add_f64_e32 v[36:37], v[40:41], v[36:37]
	s_delay_alu instid0(VALU_DEP_3) | instskip(SKIP_1) | instid1(VALU_DEP_4)
	v_fma_f64 v[38:39], v[74:75], s[38:39], -v[174:175]
	v_fma_f64 v[40:41], v[78:79], s[24:25], -v[198:199]
	v_fma_f64 v[102:103], v[76:77], s[0:1], v[98:99]
	s_delay_alu instid0(VALU_DEP_3) | instskip(SKIP_2) | instid1(VALU_DEP_3)
	v_add_f64_e32 v[38:39], v[38:39], v[46:47]
	v_fma_f64 v[46:47], v[74:75], s[24:25], -v[50:51]
	v_fma_f64 v[50:51], v[74:75], s[24:25], v[50:51]
	v_add_f64_e32 v[38:39], v[40:41], v[38:39]
	v_fma_f64 v[40:41], v[80:81], s[52:53], v[200:201]
	s_delay_alu instid0(VALU_DEP_4) | instskip(NEXT) | instid1(VALU_DEP_4)
	v_add_f64_e32 v[46:47], v[46:47], v[164:165]
	v_add_f64_e32 v[50:51], v[50:51], v[56:57]
	v_fma_f64 v[56:57], v[76:77], s[52:53], v[98:99]
	v_fma_f64 v[98:99], v[100:101], s[16:17], v[124:125]
	v_add_f64_e32 v[36:37], v[40:41], v[36:37]
	v_fma_f64 v[40:41], v[82:83], s[6:7], -v[202:203]
	s_delay_alu instid0(VALU_DEP_1) | instskip(SKIP_1) | instid1(VALU_DEP_1)
	v_add_f64_e32 v[38:39], v[40:41], v[38:39]
	v_fma_f64 v[40:41], v[84:85], s[10:11], v[204:205]
	v_add_f64_e32 v[36:37], v[40:41], v[36:37]
	v_fma_f64 v[40:41], v[86:87], s[16:17], -v[206:207]
	s_delay_alu instid0(VALU_DEP_1) | instskip(SKIP_1) | instid1(VALU_DEP_1)
	v_add_f64_e32 v[38:39], v[40:41], v[38:39]
	;; [unrolled: 5-line block ×4, first 2 shown]
	v_fma_f64 v[38:39], v[96:97], s[54:55], v[216:217]
	v_add_f64_e32 v[38:39], v[38:39], v[36:37]
	v_fma_f64 v[36:37], v[100:101], s[18:19], -v[218:219]
	s_delay_alu instid0(VALU_DEP_1) | instskip(SKIP_2) | instid1(VALU_DEP_2)
	v_add_f64_e32 v[36:37], v[36:37], v[40:41]
	v_fma_f64 v[40:41], v[72:73], s[46:47], v[52:53]
	v_fma_f64 v[52:53], v[72:73], s[28:29], v[52:53]
	v_add_f64_e32 v[40:41], v[40:41], v[42:43]
	v_fma_f64 v[42:43], v[74:75], s[36:37], -v[54:55]
	s_delay_alu instid0(VALU_DEP_3) | instskip(SKIP_1) | instid1(VALU_DEP_3)
	v_add_f64_e32 v[52:53], v[52:53], v[166:167]
	v_fma_f64 v[54:55], v[74:75], s[36:37], v[54:55]
	v_add_f64_e32 v[42:43], v[42:43], v[44:45]
	v_fma_f64 v[44:45], v[76:77], s[54:55], v[220:221]
	s_delay_alu instid0(VALU_DEP_3) | instskip(SKIP_1) | instid1(VALU_DEP_3)
	v_add_f64_e32 v[54:55], v[54:55], v[58:59]
	v_fma_f64 v[58:59], v[100:101], s[30:31], v[242:243]
	v_add_f64_e32 v[40:41], v[44:45], v[40:41]
	v_fma_f64 v[44:45], v[78:79], s[18:19], -v[222:223]
	s_delay_alu instid0(VALU_DEP_1) | instskip(SKIP_1) | instid1(VALU_DEP_1)
	v_add_f64_e32 v[42:43], v[44:45], v[42:43]
	v_fma_f64 v[44:45], v[80:81], s[10:11], v[224:225]
	v_add_f64_e32 v[40:41], v[44:45], v[40:41]
	v_fma_f64 v[44:45], v[82:83], s[16:17], -v[226:227]
	s_delay_alu instid0(VALU_DEP_1) | instskip(SKIP_1) | instid1(VALU_DEP_1)
	;; [unrolled: 5-line block ×5, first 2 shown]
	v_add_f64_e32 v[44:45], v[44:45], v[42:43]
	v_fma_f64 v[42:43], v[96:97], s[34:35], v[240:241]
	v_add_f64_e32 v[42:43], v[42:43], v[40:41]
	v_fma_f64 v[40:41], v[100:101], s[30:31], -v[242:243]
	s_delay_alu instid0(VALU_DEP_1) | instskip(SKIP_2) | instid1(VALU_DEP_2)
	v_add_f64_e32 v[40:41], v[40:41], v[44:45]
	v_fma_f64 v[44:45], v[72:73], s[56:57], v[48:49]
	v_fma_f64 v[48:49], v[72:73], s[20:21], v[48:49]
	v_add_f64_e32 v[44:45], v[44:45], v[162:163]
	s_delay_alu instid0(VALU_DEP_2) | instskip(NEXT) | instid1(VALU_DEP_2)
	v_add_f64_e32 v[48:49], v[48:49], v[160:161]
	v_add_f64_e32 v[44:45], v[102:103], v[44:45]
	v_mul_f64_e32 v[102:103], s[0:1], v[104:105]
	s_delay_alu instid0(VALU_DEP_3) | instskip(NEXT) | instid1(VALU_DEP_2)
	v_add_f64_e32 v[48:49], v[56:57], v[48:49]
	v_fma_f64 v[104:105], v[78:79], s[6:7], -v[102:103]
	v_fma_f64 v[56:57], v[78:79], s[6:7], v[102:103]
	v_fma_f64 v[102:103], v[100:101], s[36:37], v[192:193]
	s_delay_alu instid0(VALU_DEP_3) | instskip(SKIP_1) | instid1(VALU_DEP_4)
	v_add_f64_e32 v[46:47], v[104:105], v[46:47]
	v_mul_f64_e32 v[104:105], s[36:37], v[110:111]
	v_add_f64_e32 v[50:51], v[56:57], v[50:51]
	s_delay_alu instid0(VALU_DEP_2) | instskip(SKIP_1) | instid1(VALU_DEP_2)
	v_fma_f64 v[106:107], v[80:81], s[28:29], v[104:105]
	v_fma_f64 v[56:57], v[80:81], s[46:47], v[104:105]
	v_add_f64_e32 v[44:45], v[106:107], v[44:45]
	v_mul_f64_e32 v[106:107], s[28:29], v[108:109]
	s_delay_alu instid0(VALU_DEP_3) | instskip(NEXT) | instid1(VALU_DEP_2)
	v_add_f64_e32 v[48:49], v[56:57], v[48:49]
	v_fma_f64 v[108:109], v[82:83], s[36:37], -v[106:107]
	v_fma_f64 v[56:57], v[82:83], s[36:37], v[106:107]
	s_delay_alu instid0(VALU_DEP_2) | instskip(SKIP_1) | instid1(VALU_DEP_3)
	v_add_f64_e32 v[46:47], v[108:109], v[46:47]
	v_mul_f64_e32 v[108:109], s[22:23], v[114:115]
	v_add_f64_e32 v[50:51], v[56:57], v[50:51]
	s_delay_alu instid0(VALU_DEP_2) | instskip(SKIP_1) | instid1(VALU_DEP_2)
	v_fma_f64 v[110:111], v[84:85], s[48:49], v[108:109]
	v_fma_f64 v[56:57], v[84:85], s[26:27], v[108:109]
	v_add_f64_e32 v[44:45], v[110:111], v[44:45]
	v_mul_f64_e32 v[110:111], s[48:49], v[112:113]
	s_delay_alu instid0(VALU_DEP_3) | instskip(NEXT) | instid1(VALU_DEP_2)
	v_add_f64_e32 v[48:49], v[56:57], v[48:49]
	v_fma_f64 v[112:113], v[86:87], s[22:23], -v[110:111]
	v_fma_f64 v[56:57], v[86:87], s[22:23], v[110:111]
	s_delay_alu instid0(VALU_DEP_2) | instskip(SKIP_1) | instid1(VALU_DEP_3)
	;; [unrolled: 13-line block ×3, first 2 shown]
	v_add_f64_e32 v[46:47], v[116:117], v[46:47]
	v_mul_f64_e32 v[116:117], s[38:39], v[122:123]
	v_add_f64_e32 v[50:51], v[56:57], v[50:51]
	v_mul_f64_e32 v[122:123], s[16:17], v[126:127]
	s_delay_alu instid0(VALU_DEP_3) | instskip(SKIP_1) | instid1(VALU_DEP_2)
	v_fma_f64 v[118:119], v[92:93], s[40:41], v[116:117]
	v_fma_f64 v[56:57], v[92:93], s[42:43], v[116:117]
	v_add_f64_e32 v[44:45], v[118:119], v[44:45]
	v_mul_f64_e32 v[118:119], s[40:41], v[120:121]
	s_delay_alu instid0(VALU_DEP_3) | instskip(NEXT) | instid1(VALU_DEP_2)
	v_add_f64_e32 v[48:49], v[56:57], v[48:49]
	v_fma_f64 v[56:57], v[94:95], s[38:39], v[118:119]
	v_fma_f64 v[120:121], v[94:95], s[38:39], -v[118:119]
	s_delay_alu instid0(VALU_DEP_2) | instskip(SKIP_1) | instid1(VALU_DEP_3)
	v_add_f64_e32 v[56:57], v[56:57], v[50:51]
	v_fma_f64 v[50:51], v[96:97], s[10:11], v[122:123]
	v_add_f64_e32 v[120:121], v[120:121], v[46:47]
	v_fma_f64 v[46:47], v[96:97], s[50:51], v[122:123]
	s_delay_alu instid0(VALU_DEP_3)
	v_add_f64_e32 v[50:51], v[50:51], v[48:49]
	v_add_f64_e32 v[48:49], v[98:99], v[56:57]
	v_fma_f64 v[56:57], v[76:77], s[14:15], v[220:221]
	v_fma_f64 v[98:99], v[100:101], s[18:19], v[218:219]
	v_add_f64_e32 v[46:47], v[46:47], v[44:45]
	v_fma_f64 v[44:45], v[100:101], s[16:17], -v[124:125]
	s_delay_alu instid0(VALU_DEP_4) | instskip(SKIP_1) | instid1(VALU_DEP_3)
	v_add_f64_e32 v[52:53], v[56:57], v[52:53]
	v_fma_f64 v[56:57], v[78:79], s[18:19], v[222:223]
	v_add_f64_e32 v[44:45], v[44:45], v[120:121]
	s_delay_alu instid0(VALU_DEP_2) | instskip(SKIP_1) | instid1(VALU_DEP_1)
	v_add_f64_e32 v[54:55], v[56:57], v[54:55]
	v_fma_f64 v[56:57], v[80:81], s[50:51], v[224:225]
	v_add_f64_e32 v[52:53], v[56:57], v[52:53]
	v_fma_f64 v[56:57], v[82:83], s[16:17], v[226:227]
	s_delay_alu instid0(VALU_DEP_1) | instskip(SKIP_1) | instid1(VALU_DEP_1)
	v_add_f64_e32 v[54:55], v[56:57], v[54:55]
	v_fma_f64 v[56:57], v[84:85], s[42:43], v[228:229]
	v_add_f64_e32 v[52:53], v[56:57], v[52:53]
	v_fma_f64 v[56:57], v[86:87], s[38:39], v[230:231]
	s_delay_alu instid0(VALU_DEP_1) | instskip(SKIP_1) | instid1(VALU_DEP_1)
	;; [unrolled: 5-line block ×3, first 2 shown]
	v_add_f64_e32 v[54:55], v[56:57], v[54:55]
	v_fma_f64 v[56:57], v[92:93], s[52:53], v[236:237]
	v_add_f64_e32 v[52:53], v[56:57], v[52:53]
	v_fma_f64 v[56:57], v[94:95], s[6:7], v[238:239]
	v_mov_b32_e32 v239, v172
	s_delay_alu instid0(VALU_DEP_2) | instskip(SKIP_2) | instid1(VALU_DEP_2)
	v_add_f64_e32 v[56:57], v[56:57], v[54:55]
	v_fma_f64 v[54:55], v[96:97], s[44:45], v[240:241]
	v_dual_mov_b32 v241, v246 :: v_dual_mov_b32 v240, v245
	v_add_f64_e32 v[54:55], v[54:55], v[52:53]
	s_delay_alu instid0(VALU_DEP_4) | instskip(SKIP_2) | instid1(VALU_DEP_2)
	v_add_f64_e32 v[52:53], v[58:59], v[56:57]
	v_fma_f64 v[56:57], v[72:73], s[42:43], v[194:195]
	v_fma_f64 v[58:59], v[74:75], s[38:39], v[174:175]
	v_add_f64_e32 v[56:57], v[56:57], v[170:171]
	s_delay_alu instid0(VALU_DEP_2) | instskip(SKIP_1) | instid1(VALU_DEP_1)
	v_add_f64_e32 v[58:59], v[58:59], v[60:61]
	v_fma_f64 v[60:61], v[76:77], s[20:21], v[196:197]
	v_add_f64_e32 v[56:57], v[60:61], v[56:57]
	v_fma_f64 v[60:61], v[78:79], s[24:25], v[198:199]
	s_delay_alu instid0(VALU_DEP_1) | instskip(SKIP_1) | instid1(VALU_DEP_1)
	v_add_f64_e32 v[58:59], v[60:61], v[58:59]
	v_fma_f64 v[60:61], v[80:81], s[0:1], v[200:201]
	v_add_f64_e32 v[56:57], v[60:61], v[56:57]
	v_fma_f64 v[60:61], v[82:83], s[6:7], v[202:203]
	s_delay_alu instid0(VALU_DEP_1) | instskip(SKIP_1) | instid1(VALU_DEP_1)
	;; [unrolled: 5-line block ×5, first 2 shown]
	v_add_f64_e32 v[60:61], v[60:61], v[58:59]
	v_fma_f64 v[58:59], v[96:97], s[14:15], v[216:217]
	v_add_f64_e32 v[58:59], v[58:59], v[56:57]
	s_delay_alu instid0(VALU_DEP_3) | instskip(SKIP_2) | instid1(VALU_DEP_2)
	v_add_f64_e32 v[56:57], v[98:99], v[60:61]
	v_fma_f64 v[60:61], v[72:73], s[44:45], v[148:149]
	v_fma_f64 v[98:99], v[74:75], s[30:31], v[150:151]
	v_add_f64_e32 v[60:61], v[60:61], v[176:177]
	s_delay_alu instid0(VALU_DEP_2) | instskip(SKIP_1) | instid1(VALU_DEP_1)
	v_add_f64_e32 v[62:63], v[98:99], v[62:63]
	v_fma_f64 v[98:99], v[76:77], s[40:41], v[152:153]
	v_add_f64_e32 v[60:61], v[98:99], v[60:61]
	v_fma_f64 v[98:99], v[78:79], s[38:39], v[154:155]
	s_delay_alu instid0(VALU_DEP_1) | instskip(SKIP_1) | instid1(VALU_DEP_1)
	v_add_f64_e32 v[62:63], v[98:99], v[62:63]
	v_fma_f64 v[98:99], v[80:81], s[20:21], v[156:157]
	v_add_f64_e32 v[60:61], v[98:99], v[60:61]
	v_fma_f64 v[98:99], v[82:83], s[24:25], v[158:159]
	s_delay_alu instid0(VALU_DEP_1) | instskip(SKIP_1) | instid1(VALU_DEP_1)
	;; [unrolled: 5-line block ×5, first 2 shown]
	v_add_f64_e32 v[98:99], v[98:99], v[62:63]
	v_fma_f64 v[62:63], v[96:97], s[46:47], v[190:191]
	v_add_f64_e32 v[62:63], v[62:63], v[60:61]
	s_delay_alu instid0(VALU_DEP_3)
	v_add_f64_e32 v[60:61], v[102:103], v[98:99]
	ds_store_b128 v64, v[8:11]
	ds_store_b128 v64, v[24:27] offset:16
	ds_store_b128 v64, v[28:31] offset:32
	;; [unrolled: 1-line block ×16, first 2 shown]
.LBB0_7:
	s_or_b32 exec_lo, exec_lo, s33
	v_add_nc_u16 v1, v255, 34
	v_add_nc_u16 v5, v255, 0x44
	v_add_co_u32 v3, s0, 0xffffffef, v255
	s_wait_alu 0xf1ff
	v_add_co_ci_u32_e64 v4, null, 0, -1, s0
	v_and_b32_e32 v0, 0xff, v1
	v_and_b32_e32 v2, 0xff, v5
	v_cmp_gt_u16_e64 s0, 17, v255
	v_add_nc_u16 v8, v255, 0x66
	v_add_nc_u16 v9, v255, 0x88
	v_mul_lo_u16 v0, 0xf1, v0
	v_mul_lo_u16 v2, 0xf1, v2
	s_wait_alu 0xf1ff
	v_cndmask_b32_e64 v100, v3, v255, s0
	v_cndmask_b32_e64 v101, v4, 0, s0
	v_add_nc_u16 v10, v255, 0xaa
	v_lshrrev_b16 v0, 12, v0
	v_lshrrev_b16 v2, 12, v2
	s_load_b128 s[4:7], s[4:5], 0x0
	global_wb scope:SCOPE_SE
	s_wait_dscnt 0x0
	s_wait_kmcnt 0x0
	s_barrier_signal -1
	v_mul_lo_u16 v3, v0, 17
	v_mul_lo_u16 v6, v2, 17
	s_barrier_wait -1
	global_inv scope:SCOPE_SE
	v_add_co_u32 v7, null, 0xee, v255
	v_sub_nc_u16 v1, v1, v3
	v_lshlrev_b64_e32 v[3:4], 4, v[100:101]
	v_sub_nc_u16 v11, v5, v6
	s_delay_alu instid0(VALU_DEP_4)
	v_and_b32_e32 v14, 0xffff, v7
	v_add_lshl_u32 v177, v169, v255, 4
	v_and_b32_e32 v12, 0xff, v1
	v_and_b32_e32 v2, 0xffff, v2
	v_add_co_u32 v5, s0, s2, v3
	s_wait_alu 0xf1ff
	v_add_co_ci_u32_e64 v6, s0, s3, v4, s0
	v_lshlrev_b32_e32 v4, 4, v12
	v_and_b32_e32 v12, 0xff, v8
	v_and_b32_e32 v3, 0xff, v11
	;; [unrolled: 1-line block ×3, first 2 shown]
	s_clause 0x1
	global_load_b128 v[22:25], v[5:6], off
	global_load_b128 v[18:21], v4, s[2:3]
	v_add_nc_u16 v4, v255, 0xcc
	v_mul_lo_u16 v6, 0xf1, v12
	v_and_b32_e32 v12, 0xff, v10
	v_mul_lo_u16 v11, 0xf1, v11
	v_mul_u32_u24_e32 v14, 0xf0f1, v14
	v_and_b32_e32 v13, 0xff, v4
	v_lshrrev_b16 v6, 12, v6
	v_mul_lo_u16 v12, 0xf1, v12
	v_lshrrev_b16 v11, 12, v11
	v_lshrrev_b32_e32 v14, 20, v14
	v_mul_lo_u16 v13, 0xf1, v13
	v_mul_lo_u16 v15, v6, 17
	v_lshrrev_b16 v12, 12, v12
	v_mul_lo_u16 v16, v11, 17
	v_mul_lo_u16 v17, v14, 17
	v_lshrrev_b16 v13, 12, v13
	v_sub_nc_u16 v8, v8, v15
	v_mul_lo_u16 v15, v12, 17
	v_sub_nc_u16 v9, v9, v16
	v_sub_nc_u16 v7, v7, v17
	v_mul_lo_u16 v16, v13, 17
	v_and_b32_e32 v8, 0xff, v8
	v_sub_nc_u16 v10, v10, v15
	v_and_b32_e32 v9, 0xff, v9
	v_lshlrev_b32_e32 v5, 4, v3
	v_sub_nc_u16 v4, v4, v16
	v_lshlrev_b32_e32 v15, 4, v8
	v_and_b32_e32 v10, 0xff, v10
	v_lshlrev_b32_e32 v16, 4, v9
	v_and_b32_e32 v17, 0xffff, v7
	v_and_b32_e32 v4, 0xff, v4
	s_clause 0x1
	global_load_b128 v[101:104], v5, s[2:3]
	global_load_b128 v[105:108], v15, s[2:3]
	v_lshlrev_b32_e32 v5, 4, v10
	global_load_b128 v[109:112], v16, s[2:3]
	v_lshlrev_b32_e32 v15, 4, v4
	v_lshlrev_b32_e32 v16, 4, v17
	s_clause 0x2
	global_load_b128 v[113:116], v5, s[2:3]
	global_load_b128 v[30:33], v15, s[2:3]
	;; [unrolled: 1-line block ×3, first 2 shown]
	ds_load_b128 v[36:39], v177 offset:4352
	ds_load_b128 v[40:43], v177 offset:4896
	;; [unrolled: 1-line block ×8, first 2 shown]
	v_cmp_lt_u16_e64 s0, 16, v255
	v_mul_u32_u24_e32 v2, 34, v2
	v_mad_u16 v0, v0, 34, v1
	v_mad_u16 v7, v14, 34, v7
	s_mov_b32 s10, 0xcf328d46
	s_wait_alu 0xf1ff
	v_cndmask_b32_e64 v5, 0, 34, s0
	v_add_nc_u32_e32 v2, v2, v3
	v_and_b32_e32 v0, 0xff, v0
	s_mov_b32 s0, 0x667f3bcd
	s_mov_b32 s1, 0xbfe6a09e
	v_add_nc_u32_e32 v5, v100, v5
	v_add_lshl_u32 v2, v169, v2, 4
	s_mov_b32 s14, 0xa6aea964
	s_mov_b32 s11, 0xbfed906b
	;; [unrolled: 1-line block ×3, first 2 shown]
	v_add_lshl_u32 v245, v169, v5, 4
	v_and_b32_e32 v5, 0xffff, v6
	v_and_b32_e32 v6, 0xffff, v11
	;; [unrolled: 1-line block ×4, first 2 shown]
	s_mov_b32 s17, 0x3fd87de2
	v_mul_u32_u24_e32 v5, 34, v5
	v_mul_u32_u24_e32 v1, 34, v6
	;; [unrolled: 1-line block ×4, first 2 shown]
	s_mov_b32 s19, 0x3fed906b
	v_add_nc_u32_e32 v3, v5, v8
	v_add_nc_u32_e32 v1, v1, v9
	;; [unrolled: 1-line block ×4, first 2 shown]
	v_and_b32_e32 v6, 0xffff, v7
	v_add_lshl_u32 v7, v169, v0, 4
	v_add_lshl_u32 v0, v169, v3, 4
	;; [unrolled: 1-line block ×6, first 2 shown]
	s_wait_alu 0xfffe
	s_mov_b32 s16, s14
	s_mov_b32 s18, s10
	s_wait_loadcnt_dscnt 0x707
	v_mul_f64_e32 v[68:69], v[38:39], v[24:25]
	v_mul_f64_e32 v[70:71], v[36:37], v[24:25]
	s_wait_loadcnt_dscnt 0x606
	v_mul_f64_e32 v[72:73], v[42:43], v[20:21]
	v_mul_f64_e32 v[74:75], v[40:41], v[20:21]
	s_clause 0x1
	scratch_store_b128 off, v[22:25], off offset:16
	scratch_store_b128 off, v[18:21], off
	s_wait_loadcnt_dscnt 0x505
	v_mul_f64_e32 v[76:77], v[46:47], v[103:104]
	v_mul_f64_e32 v[78:79], v[44:45], v[103:104]
	s_wait_loadcnt_dscnt 0x404
	v_mul_f64_e32 v[80:81], v[50:51], v[107:108]
	v_mul_f64_e32 v[82:83], v[48:49], v[107:108]
	;; [unrolled: 3-line block ×6, first 2 shown]
	v_fma_f64 v[68:69], v[36:37], v[22:23], -v[68:69]
	v_fma_f64 v[70:71], v[38:39], v[22:23], v[70:71]
	v_fma_f64 v[72:73], v[40:41], v[18:19], -v[72:73]
	v_fma_f64 v[74:75], v[42:43], v[18:19], v[74:75]
	s_clause 0x5
	scratch_store_b128 off, v[101:104], off offset:64
	scratch_store_b128 off, v[105:108], off offset:80
	;; [unrolled: 1-line block ×6, first 2 shown]
	v_fma_f64 v[76:77], v[44:45], v[101:102], -v[76:77]
	v_fma_f64 v[78:79], v[46:47], v[101:102], v[78:79]
	v_fma_f64 v[80:81], v[48:49], v[105:106], -v[80:81]
	v_fma_f64 v[82:83], v[50:51], v[105:106], v[82:83]
	;; [unrolled: 2-line block ×6, first 2 shown]
	ds_load_b128 v[36:39], v177
	ds_load_b128 v[40:43], v177 offset:544
	ds_load_b128 v[44:47], v177 offset:1088
	;; [unrolled: 1-line block ×7, first 2 shown]
	v_mad_co_u64_u32 v[100:101], null, 0xf0, v255, s[2:3]
	global_wb scope:SCOPE_SE
	s_wait_storecnt_dscnt 0x0
	s_barrier_signal -1
	s_barrier_wait -1
	global_inv scope:SCOPE_SE
	s_mov_b32 s3, 0x3fe6a09e
	s_mov_b32 s2, s0
	v_add_f64_e64 v[68:69], v[36:37], -v[68:69]
	v_add_f64_e64 v[70:71], v[38:39], -v[70:71]
	v_add_f64_e64 v[72:73], v[40:41], -v[72:73]
	v_add_f64_e64 v[74:75], v[42:43], -v[74:75]
	v_add_f64_e64 v[76:77], v[44:45], -v[76:77]
	v_add_f64_e64 v[78:79], v[46:47], -v[78:79]
	v_add_f64_e64 v[80:81], v[48:49], -v[80:81]
	v_add_f64_e64 v[82:83], v[50:51], -v[82:83]
	v_add_f64_e64 v[84:85], v[52:53], -v[84:85]
	v_add_f64_e64 v[86:87], v[54:55], -v[86:87]
	v_add_f64_e64 v[88:89], v[56:57], -v[88:89]
	v_add_f64_e64 v[90:91], v[58:59], -v[90:91]
	v_add_f64_e64 v[92:93], v[60:61], -v[92:93]
	v_add_f64_e64 v[94:95], v[62:63], -v[94:95]
	v_add_f64_e64 v[96:97], v[64:65], -v[96:97]
	v_add_f64_e64 v[98:99], v[66:67], -v[98:99]
	v_fma_f64 v[36:37], v[36:37], 2.0, -v[68:69]
	v_fma_f64 v[38:39], v[38:39], 2.0, -v[70:71]
	;; [unrolled: 1-line block ×4, first 2 shown]
	ds_store_b128 v245, v[36:39]
	ds_store_b128 v245, v[68:71] offset:272
	ds_store_b128 v7, v[40:43]
	v_fma_f64 v[44:45], v[44:45], 2.0, -v[76:77]
	v_fma_f64 v[46:47], v[46:47], 2.0, -v[78:79]
	;; [unrolled: 1-line block ×12, first 2 shown]
	scratch_store_b32 off, v7, off offset:328 ; 4-byte Folded Spill
	ds_store_b128 v7, v[72:75] offset:272
	ds_store_b128 v2, v[44:47]
	scratch_store_b32 off, v2, off offset:324 ; 4-byte Folded Spill
	ds_store_b128 v2, v[76:79] offset:272
	ds_store_b128 v0, v[48:51]
	;; [unrolled: 3-line block ×3, first 2 shown]
	ds_store_b128 v246, v[84:87] offset:272
	ds_store_b128 v243, v[56:59]
	ds_store_b128 v243, v[88:91] offset:272
	ds_store_b128 v242, v[60:63]
	;; [unrolled: 2-line block ×3, first 2 shown]
	ds_store_b128 v244, v[96:99] offset:272
	global_wb scope:SCOPE_SE
	s_wait_storecnt_dscnt 0x0
	s_barrier_signal -1
	s_barrier_wait -1
	global_inv scope:SCOPE_SE
	s_clause 0xe
	global_load_b128 v[16:19], v[100:101], off offset:272
	global_load_b128 v[12:15], v[100:101], off offset:288
	;; [unrolled: 1-line block ×15, first 2 shown]
	ds_load_b128 v[0:3], v177 offset:544
	ds_load_b128 v[96:99], v177 offset:1088
	ds_load_b128 v[100:103], v177 offset:1632
	ds_load_b128 v[104:107], v177 offset:2176
	ds_load_b128 v[108:111], v177 offset:2720
	ds_load_b128 v[112:115], v177 offset:3264
	ds_load_b128 v[116:119], v177 offset:3808
	ds_load_b128 v[120:123], v177 offset:4352
	ds_load_b128 v[124:127], v177 offset:4896
	ds_load_b128 v[128:131], v177 offset:5440
	ds_load_b128 v[132:135], v177 offset:5984
	ds_load_b128 v[136:139], v177 offset:6528
	ds_load_b128 v[140:143], v177 offset:7072
	ds_load_b128 v[144:147], v177 offset:7616
	ds_load_b128 v[148:151], v177 offset:8160
	s_wait_loadcnt_dscnt 0xe0e
	v_mul_f64_e32 v[152:153], v[2:3], v[18:19]
	v_mul_f64_e32 v[154:155], v[0:1], v[18:19]
	s_wait_loadcnt_dscnt 0xd0d
	v_mul_f64_e32 v[156:157], v[98:99], v[14:15]
	v_mul_f64_e32 v[158:159], v[96:97], v[14:15]
	;; [unrolled: 3-line block ×9, first 2 shown]
	s_wait_loadcnt 0x5
	v_mul_f64_e32 v[192:193], v[130:131], v[42:43]
	v_mul_f64_e32 v[194:195], v[128:129], v[42:43]
	s_wait_loadcnt_dscnt 0x401
	v_mul_f64_e32 v[196:197], v[146:147], v[54:55]
	v_mul_f64_e32 v[198:199], v[144:145], v[54:55]
	s_wait_loadcnt 0x3
	v_mul_f64_e32 v[200:201], v[126:127], v[46:47]
	v_mul_f64_e32 v[202:203], v[124:125], v[46:47]
	s_wait_loadcnt 0x2
	;; [unrolled: 3-line block ×3, first 2 shown]
	v_mul_f64_e32 v[208:209], v[134:135], v[90:91]
	v_mul_f64_e32 v[210:211], v[132:133], v[90:91]
	s_wait_loadcnt_dscnt 0x0
	v_mul_f64_e32 v[212:213], v[148:149], v[50:51]
	v_mul_f64_e32 v[214:215], v[150:151], v[50:51]
	s_clause 0x7
	scratch_store_b128 off, v[16:19], off offset:176
	scratch_store_b128 off, v[12:15], off offset:160
	;; [unrolled: 1-line block ×8, first 2 shown]
	v_fma_f64 v[152:153], v[0:1], v[16:17], -v[152:153]
	v_fma_f64 v[154:155], v[2:3], v[16:17], v[154:155]
	v_fma_f64 v[96:97], v[96:97], v[12:13], -v[156:157]
	v_fma_f64 v[98:99], v[98:99], v[12:13], v[158:159]
	;; [unrolled: 2-line block ×14, first 2 shown]
	v_fma_f64 v[150:151], v[150:151], v[48:49], v[212:213]
	v_fma_f64 v[148:149], v[148:149], v[48:49], -v[214:215]
	ds_load_b128 v[0:3], v177
	s_clause 0x4
	scratch_store_b128 off, v[36:39], off offset:256
	scratch_store_b128 off, v[40:43], off offset:272
	;; [unrolled: 1-line block ×5, first 2 shown]
	s_wait_dscnt 0x0
	v_add_f64_e64 v[120:121], v[0:1], -v[120:121]
	v_add_f64_e64 v[122:123], v[2:3], -v[122:123]
	;; [unrolled: 1-line block ×16, first 2 shown]
	v_fma_f64 v[0:1], v[0:1], 2.0, -v[120:121]
	v_fma_f64 v[2:3], v[2:3], 2.0, -v[122:123]
	v_add_f64_e32 v[158:159], v[122:123], v[136:137]
	v_add_f64_e64 v[156:157], v[120:121], -v[138:139]
	v_fma_f64 v[104:105], v[104:105], 2.0, -v[136:137]
	v_fma_f64 v[106:107], v[106:107], 2.0, -v[138:139]
	v_add_f64_e32 v[162:163], v[130:131], v[144:145]
	v_add_f64_e64 v[160:161], v[128:129], -v[146:147]
	;; [unrolled: 4-line block ×3, first 2 shown]
	v_fma_f64 v[112:113], v[112:113], 2.0, -v[144:145]
	v_fma_f64 v[114:115], v[114:115], 2.0, -v[146:147]
	v_add_f64_e64 v[169:170], v[132:133], -v[150:151]
	v_add_f64_e32 v[171:172], v[134:135], v[148:149]
	v_fma_f64 v[136:137], v[152:153], 2.0, -v[124:125]
	v_fma_f64 v[138:139], v[154:155], 2.0, -v[126:127]
	;; [unrolled: 1-line block ×10, first 2 shown]
	v_add_f64_e64 v[104:105], v[0:1], -v[104:105]
	v_add_f64_e64 v[106:107], v[2:3], -v[106:107]
	v_fma_f64 v[130:131], v[130:131], 2.0, -v[162:163]
	v_fma_f64 v[128:129], v[128:129], 2.0, -v[160:161]
	s_wait_alu 0xfffe
	v_fma_f64 v[140:141], v[160:161], s[2:3], v[156:157]
	v_fma_f64 v[142:143], v[162:163], s[2:3], v[158:159]
	v_fma_f64 v[126:127], v[126:127], 2.0, -v[166:167]
	v_fma_f64 v[124:125], v[124:125], 2.0, -v[164:165]
	v_add_f64_e64 v[112:113], v[96:97], -v[112:113]
	v_add_f64_e64 v[114:115], v[98:99], -v[114:115]
	v_fma_f64 v[132:133], v[132:133], 2.0, -v[169:170]
	v_fma_f64 v[134:135], v[134:135], 2.0, -v[171:172]
	v_fma_f64 v[144:145], v[169:170], s[2:3], v[164:165]
	v_fma_f64 v[146:147], v[171:172], s[2:3], v[166:167]
	v_add_f64_e64 v[108:109], v[136:137], -v[108:109]
	v_add_f64_e64 v[110:111], v[138:139], -v[110:111]
	;; [unrolled: 1-line block ×4, first 2 shown]
	v_fma_f64 v[0:1], v[0:1], 2.0, -v[104:105]
	v_fma_f64 v[2:3], v[2:3], 2.0, -v[106:107]
	v_fma_f64 v[150:151], v[130:131], s[0:1], v[122:123]
	v_fma_f64 v[148:149], v[128:129], s[0:1], v[120:121]
	;; [unrolled: 1-line block ×4, first 2 shown]
	v_fma_f64 v[96:97], v[96:97], 2.0, -v[112:113]
	v_fma_f64 v[98:99], v[98:99], 2.0, -v[114:115]
	v_fma_f64 v[152:153], v[132:133], s[0:1], v[124:125]
	v_fma_f64 v[154:155], v[134:135], s[0:1], v[126:127]
	;; [unrolled: 1-line block ×4, first 2 shown]
	v_fma_f64 v[136:137], v[136:137], 2.0, -v[108:109]
	v_fma_f64 v[138:139], v[138:139], 2.0, -v[110:111]
	v_add_f64_e64 v[169:170], v[104:105], -v[114:115]
	v_add_f64_e32 v[171:172], v[106:107], v[112:113]
	v_fma_f64 v[100:101], v[100:101], 2.0, -v[116:117]
	v_fma_f64 v[102:103], v[102:103], 2.0, -v[118:119]
	v_add_f64_e64 v[112:113], v[108:109], -v[118:119]
	v_add_f64_e32 v[114:115], v[110:111], v[116:117]
	v_fma_f64 v[178:179], v[128:129], s[2:3], v[150:151]
	v_fma_f64 v[174:175], v[130:131], s[0:1], v[148:149]
	v_fma_f64 v[148:149], v[156:157], 2.0, -v[162:163]
	v_fma_f64 v[150:151], v[158:159], 2.0, -v[160:161]
	v_add_f64_e64 v[116:117], v[0:1], -v[96:97]
	v_fma_f64 v[118:119], v[134:135], s[0:1], v[152:153]
	v_fma_f64 v[132:133], v[132:133], s[2:3], v[154:155]
	v_add_f64_e64 v[134:135], v[2:3], -v[98:99]
	v_fma_f64 v[144:145], v[164:165], 2.0, -v[140:141]
	v_fma_f64 v[146:147], v[166:167], 2.0, -v[142:143]
	v_fma_f64 v[180:181], v[140:141], s[18:19], v[162:163]
	v_fma_f64 v[152:153], v[104:105], 2.0, -v[169:170]
	v_fma_f64 v[154:155], v[106:107], 2.0, -v[171:172]
	v_add_f64_e64 v[96:97], v[136:137], -v[100:101]
	v_add_f64_e64 v[98:99], v[138:139], -v[102:103]
	v_fma_f64 v[156:157], v[108:109], 2.0, -v[112:113]
	v_fma_f64 v[100:101], v[112:113], s[2:3], v[169:170]
	v_fma_f64 v[102:103], v[114:115], s[2:3], v[171:172]
	;; [unrolled: 1-line block ×3, first 2 shown]
	v_fma_f64 v[164:165], v[122:123], 2.0, -v[178:179]
	v_fma_f64 v[158:159], v[120:121], 2.0, -v[174:175]
	v_fma_f64 v[120:121], v[110:111], 2.0, -v[114:115]
	v_fma_f64 v[0:1], v[0:1], 2.0, -v[116:117]
	v_fma_f64 v[122:123], v[124:125], 2.0, -v[118:119]
	v_fma_f64 v[124:125], v[126:127], 2.0, -v[132:133]
	v_fma_f64 v[2:3], v[2:3], 2.0, -v[134:135]
	v_fma_f64 v[126:127], v[144:145], s[14:15], v[148:149]
	v_fma_f64 v[166:167], v[132:133], s[16:17], v[178:179]
	v_fma_f64 v[104:105], v[136:137], 2.0, -v[96:97]
	v_fma_f64 v[106:107], v[138:139], 2.0, -v[98:99]
	v_fma_f64 v[136:137], v[146:147], s[14:15], v[150:151]
	v_fma_f64 v[138:139], v[118:119], s[16:17], v[174:175]
	;; [unrolled: 1-line block ×3, first 2 shown]
	v_add_f64_e64 v[108:109], v[116:117], -v[98:99]
	v_add_f64_e32 v[110:111], v[134:135], v[96:97]
	v_fma_f64 v[100:101], v[114:115], s[0:1], v[100:101]
	v_fma_f64 v[102:103], v[112:113], s[2:3], v[102:103]
	;; [unrolled: 1-line block ×8, first 2 shown]
	v_add_f64_e64 v[128:129], v[0:1], -v[104:105]
	v_add_f64_e64 v[130:131], v[2:3], -v[106:107]
	v_fma_f64 v[114:115], v[144:145], s[18:19], v[136:137]
	v_fma_f64 v[104:105], v[132:133], s[10:11], v[138:139]
	;; [unrolled: 1-line block ×4, first 2 shown]
	v_fma_f64 v[144:145], v[116:117], 2.0, -v[108:109]
	v_fma_f64 v[146:147], v[134:135], 2.0, -v[110:111]
	;; [unrolled: 1-line block ×6, first 2 shown]
	v_fma_f64 v[124:125], v[124:125], s[14:15], v[186:187]
	v_fma_f64 v[126:127], v[122:123], s[16:17], v[188:189]
	;; [unrolled: 1-line block ×3, first 2 shown]
	v_fma_f64 v[148:149], v[148:149], 2.0, -v[112:113]
	v_fma_f64 v[116:117], v[0:1], 2.0, -v[128:129]
	v_fma_f64 v[118:119], v[2:3], 2.0, -v[130:131]
	v_fma_f64 v[150:151], v[150:151], 2.0, -v[114:115]
	v_fma_f64 v[140:141], v[174:175], 2.0, -v[104:105]
	v_fma_f64 v[142:143], v[178:179], 2.0, -v[106:107]
	v_fma_f64 v[152:153], v[152:153], 2.0, -v[120:121]
	v_lshl_add_u32 v178, v255, 4, v241
	v_lshl_add_u32 v174, v255, 4, v241
	v_fma_f64 v[156:157], v[158:159], 2.0, -v[124:125]
	v_fma_f64 v[158:159], v[164:165], 2.0, -v[126:127]
	;; [unrolled: 1-line block ×3, first 2 shown]
	ds_store_b128 v178, v[116:119]
	ds_store_b128 v174, v[148:151] offset:1632
	ds_store_b128 v174, v[144:147] offset:2176
	;; [unrolled: 1-line block ×15, first 2 shown]
	global_wb scope:SCOPE_SE
	s_wait_storecnt_dscnt 0x0
	s_barrier_signal -1
	s_barrier_wait -1
	global_inv scope:SCOPE_SE
	s_and_saveexec_b32 s2, vcc_lo
	s_cbranch_execz .LBB0_9
; %bb.8:
	global_load_b128 v[0:3], v173, s[8:9] offset:8704
	s_add_nc_u64 s[0:1], s[8:9], 0x2200
	s_clause 0x4
	global_load_b128 v[160:163], v173, s[0:1] offset:512
	global_load_b128 v[164:167], v173, s[0:1] offset:1024
	;; [unrolled: 1-line block ×5, first 2 shown]
	ds_load_b128 v[187:190], v240
	s_wait_loadcnt_dscnt 0x500
	v_mul_f64_e32 v[175:176], v[189:190], v[2:3]
	v_mul_f64_e32 v[2:3], v[187:188], v[2:3]
	s_delay_alu instid0(VALU_DEP_2) | instskip(NEXT) | instid1(VALU_DEP_2)
	v_fma_f64 v[187:188], v[187:188], v[0:1], -v[175:176]
	v_fma_f64 v[189:190], v[189:190], v[0:1], v[2:3]
	ds_store_b128 v240, v[187:190]
	ds_load_b128 v[0:3], v174 offset:512
	ds_load_b128 v[187:190], v174 offset:1024
	s_wait_loadcnt_dscnt 0x401
	v_mul_f64_e32 v[175:176], v[2:3], v[162:163]
	v_mul_f64_e32 v[162:163], v[0:1], v[162:163]
	s_wait_loadcnt_dscnt 0x300
	v_mul_f64_e32 v[195:196], v[189:190], v[166:167]
	v_mul_f64_e32 v[166:167], v[187:188], v[166:167]
	s_delay_alu instid0(VALU_DEP_4) | instskip(NEXT) | instid1(VALU_DEP_4)
	v_fma_f64 v[0:1], v[0:1], v[160:161], -v[175:176]
	v_fma_f64 v[2:3], v[2:3], v[160:161], v[162:163]
	ds_load_b128 v[160:163], v174 offset:1536
	ds_load_b128 v[191:194], v174 offset:2048
	v_fma_f64 v[187:188], v[187:188], v[164:165], -v[195:196]
	v_fma_f64 v[189:190], v[189:190], v[164:165], v[166:167]
	s_wait_loadcnt_dscnt 0x201
	v_mul_f64_e32 v[175:176], v[162:163], v[171:172]
	v_mul_f64_e32 v[164:165], v[160:161], v[171:172]
	s_wait_loadcnt_dscnt 0x100
	v_mul_f64_e32 v[195:196], v[193:194], v[181:182]
	v_mul_f64_e32 v[181:182], v[191:192], v[181:182]
	s_delay_alu instid0(VALU_DEP_4) | instskip(NEXT) | instid1(VALU_DEP_4)
	v_fma_f64 v[160:161], v[160:161], v[169:170], -v[175:176]
	v_fma_f64 v[162:163], v[162:163], v[169:170], v[164:165]
	ds_load_b128 v[169:172], v174 offset:2560
	global_load_b128 v[164:167], v173, s[0:1] offset:3072
	v_fma_f64 v[191:192], v[191:192], v[179:180], -v[195:196]
	v_fma_f64 v[193:194], v[193:194], v[179:180], v[181:182]
	ds_load_b128 v[179:182], v174 offset:3072
	s_wait_loadcnt_dscnt 0x101
	v_mul_f64_e32 v[175:176], v[171:172], v[185:186]
	v_mul_f64_e32 v[185:186], v[169:170], v[185:186]
	s_delay_alu instid0(VALU_DEP_2) | instskip(NEXT) | instid1(VALU_DEP_2)
	v_fma_f64 v[169:170], v[169:170], v[183:184], -v[175:176]
	v_fma_f64 v[171:172], v[171:172], v[183:184], v[185:186]
	global_load_b128 v[183:186], v173, s[0:1] offset:3584
	s_wait_loadcnt_dscnt 0x100
	v_mul_f64_e32 v[175:176], v[181:182], v[166:167]
	v_mul_f64_e32 v[166:167], v[179:180], v[166:167]
	s_delay_alu instid0(VALU_DEP_2) | instskip(NEXT) | instid1(VALU_DEP_2)
	v_fma_f64 v[179:180], v[179:180], v[164:165], -v[175:176]
	v_fma_f64 v[181:182], v[181:182], v[164:165], v[166:167]
	ds_load_b128 v[164:167], v174 offset:3584
	ds_load_b128 v[195:198], v174 offset:4096
	s_wait_loadcnt_dscnt 0x1
	v_mul_f64_e32 v[175:176], v[166:167], v[185:186]
	v_mul_f64_e32 v[185:186], v[164:165], v[185:186]
	s_delay_alu instid0(VALU_DEP_2) | instskip(NEXT) | instid1(VALU_DEP_2)
	v_fma_f64 v[164:165], v[164:165], v[183:184], -v[175:176]
	v_fma_f64 v[166:167], v[166:167], v[183:184], v[185:186]
	s_clause 0x1
	global_load_b128 v[183:186], v173, s[0:1] offset:4096
	global_load_b128 v[199:202], v173, s[0:1] offset:4608
	s_wait_loadcnt_dscnt 0x100
	v_mul_f64_e32 v[175:176], v[197:198], v[185:186]
	v_mul_f64_e32 v[185:186], v[195:196], v[185:186]
	s_delay_alu instid0(VALU_DEP_2) | instskip(NEXT) | instid1(VALU_DEP_2)
	v_fma_f64 v[195:196], v[195:196], v[183:184], -v[175:176]
	v_fma_f64 v[197:198], v[197:198], v[183:184], v[185:186]
	ds_load_b128 v[183:186], v174 offset:4608
	ds_load_b128 v[203:206], v174 offset:5120
	s_wait_loadcnt_dscnt 0x1
	v_mul_f64_e32 v[175:176], v[185:186], v[201:202]
	v_mul_f64_e32 v[201:202], v[183:184], v[201:202]
	s_delay_alu instid0(VALU_DEP_2) | instskip(NEXT) | instid1(VALU_DEP_2)
	v_fma_f64 v[183:184], v[183:184], v[199:200], -v[175:176]
	v_fma_f64 v[185:186], v[185:186], v[199:200], v[201:202]
	s_clause 0x1
	global_load_b128 v[199:202], v173, s[0:1] offset:5120
	global_load_b128 v[207:210], v173, s[0:1] offset:5632
	s_wait_loadcnt_dscnt 0x100
	v_mul_f64_e32 v[175:176], v[205:206], v[201:202]
	v_mul_f64_e32 v[211:212], v[203:204], v[201:202]
	s_delay_alu instid0(VALU_DEP_2) | instskip(NEXT) | instid1(VALU_DEP_2)
	v_fma_f64 v[201:202], v[203:204], v[199:200], -v[175:176]
	v_fma_f64 v[203:204], v[205:206], v[199:200], v[211:212]
	ds_load_b128 v[211:214], v174 offset:5632
	ds_load_b128 v[215:218], v174 offset:6144
	s_wait_loadcnt_dscnt 0x1
	v_mul_f64_e32 v[175:176], v[213:214], v[209:210]
	v_mul_f64_e32 v[199:200], v[211:212], v[209:210]
	s_delay_alu instid0(VALU_DEP_2)
	v_fma_f64 v[205:206], v[211:212], v[207:208], -v[175:176]
	s_clause 0x1
	global_load_b128 v[209:212], v173, s[0:1] offset:6144
	global_load_b128 v[219:222], v173, s[0:1] offset:6656
	v_fma_f64 v[207:208], v[213:214], v[207:208], v[199:200]
	s_wait_loadcnt_dscnt 0x100
	v_mul_f64_e32 v[175:176], v[217:218], v[211:212]
	v_mul_f64_e32 v[199:200], v[215:216], v[211:212]
	s_delay_alu instid0(VALU_DEP_2) | instskip(NEXT) | instid1(VALU_DEP_2)
	v_fma_f64 v[211:212], v[215:216], v[209:210], -v[175:176]
	v_fma_f64 v[213:214], v[217:218], v[209:210], v[199:200]
	ds_load_b128 v[215:218], v174 offset:6656
	ds_load_b128 v[223:226], v174 offset:7168
	s_wait_loadcnt_dscnt 0x1
	v_mul_f64_e32 v[175:176], v[217:218], v[221:222]
	v_mul_f64_e32 v[199:200], v[215:216], v[221:222]
	s_delay_alu instid0(VALU_DEP_2) | instskip(NEXT) | instid1(VALU_DEP_2)
	v_fma_f64 v[215:216], v[215:216], v[219:220], -v[175:176]
	v_fma_f64 v[217:218], v[217:218], v[219:220], v[199:200]
	s_clause 0x1
	global_load_b128 v[219:222], v173, s[0:1] offset:7168
	global_load_b128 v[227:230], v173, s[0:1] offset:7680
	ds_load_b128 v[231:234], v174 offset:7680
	ds_load_b128 v[235:238], v174 offset:8192
	s_wait_loadcnt_dscnt 0x102
	v_mul_f64_e32 v[175:176], v[225:226], v[221:222]
	v_mul_f64_e32 v[199:200], v[223:224], v[221:222]
	s_delay_alu instid0(VALU_DEP_2) | instskip(SKIP_2) | instid1(VALU_DEP_3)
	v_fma_f64 v[221:222], v[223:224], v[219:220], -v[175:176]
	s_wait_loadcnt_dscnt 0x1
	v_mul_f64_e32 v[175:176], v[233:234], v[229:230]
	v_fma_f64 v[223:224], v[225:226], v[219:220], v[199:200]
	v_mul_f64_e32 v[199:200], v[231:232], v[229:230]
	s_delay_alu instid0(VALU_DEP_3)
	v_fma_f64 v[225:226], v[231:232], v[227:228], -v[175:176]
	global_load_b128 v[229:232], v173, s[0:1] offset:8192
	v_fma_f64 v[227:228], v[233:234], v[227:228], v[199:200]
	s_wait_loadcnt_dscnt 0x0
	v_mul_f64_e32 v[175:176], v[237:238], v[231:232]
	v_mul_f64_e32 v[199:200], v[235:236], v[231:232]
	s_delay_alu instid0(VALU_DEP_2) | instskip(NEXT) | instid1(VALU_DEP_2)
	v_fma_f64 v[231:232], v[235:236], v[229:230], -v[175:176]
	v_fma_f64 v[233:234], v[237:238], v[229:230], v[199:200]
	ds_store_b128 v174, v[0:3] offset:512
	ds_store_b128 v174, v[187:190] offset:1024
	ds_store_b128 v174, v[160:163] offset:1536
	ds_store_b128 v174, v[191:194] offset:2048
	ds_store_b128 v174, v[169:172] offset:2560
	ds_store_b128 v174, v[179:182] offset:3072
	ds_store_b128 v174, v[164:167] offset:3584
	ds_store_b128 v174, v[195:198] offset:4096
	ds_store_b128 v174, v[183:186] offset:4608
	ds_store_b128 v174, v[201:204] offset:5120
	ds_store_b128 v174, v[205:208] offset:5632
	ds_store_b128 v174, v[211:214] offset:6144
	ds_store_b128 v174, v[215:218] offset:6656
	ds_store_b128 v174, v[221:224] offset:7168
	ds_store_b128 v174, v[225:228] offset:7680
	ds_store_b128 v174, v[231:234] offset:8192
.LBB0_9:
	s_wait_alu 0xfffe
	s_or_b32 exec_lo, exec_lo, s2
	global_wb scope:SCOPE_SE
	s_wait_dscnt 0x0
	s_barrier_signal -1
	s_barrier_wait -1
	global_inv scope:SCOPE_SE
	s_and_saveexec_b32 s0, vcc_lo
	s_cbranch_execz .LBB0_11
; %bb.10:
	ds_load_b128 v[116:119], v240
	ds_load_b128 v[156:159], v178 offset:512
	ds_load_b128 v[152:155], v178 offset:1024
	;; [unrolled: 1-line block ×16, first 2 shown]
.LBB0_11:
	s_wait_alu 0xfffe
	s_or_b32 exec_lo, exec_lo, s0
	global_wb scope:SCOPE_SE
	s_wait_dscnt 0x0
	s_barrier_signal -1
	s_barrier_wait -1
	global_inv scope:SCOPE_SE
	s_and_saveexec_b32 s33, vcc_lo
	s_cbranch_execz .LBB0_13
; %bb.12:
	v_dual_mov_b32 v193, v251 :: v_dual_mov_b32 v194, v252
	v_dual_mov_b32 v195, v253 :: v_dual_mov_b32 v196, v254
	s_mov_b32 s22, 0xacd6c6b4
	s_mov_b32 s23, 0xbfc7851a
	s_delay_alu instid0(VALU_DEP_2)
	v_add_f64_e64 v[223:224], v[156:157], -v[193:194]
	v_add_f64_e64 v[15:16], v[128:129], -v[124:125]
	v_add_f64_e32 v[213:214], v[195:196], v[158:159]
	v_add_f64_e64 v[17:18], v[130:131], -v[126:127]
	s_mov_b32 s0, 0x7faef3
	s_mov_b32 s1, 0xbfef7484
	;; [unrolled: 1-line block ×6, first 2 shown]
	v_add_f64_e64 v[221:222], v[158:159], -v[195:196]
	v_add_f64_e64 v[48:49], v[132:133], -v[120:121]
	;; [unrolled: 1-line block ×3, first 2 shown]
	s_mov_b32 s44, 0x2a9d6da3
	s_mov_b32 s26, 0x5d8e7cdc
	;; [unrolled: 1-line block ×4, first 2 shown]
	v_add_f64_e32 v[215:216], v[193:194], v[156:157]
	v_add_f64_e64 v[219:220], v[154:155], -v[98:99]
	v_add_f64_e64 v[207:208], v[148:149], -v[100:101]
	v_add_f64_e32 v[205:206], v[98:99], v[154:155]
	v_add_f64_e64 v[38:39], v[134:135], -v[122:123]
	s_clause 0x5
	scratch_store_b32 off, v245, off offset:356
	scratch_store_b32 off, v246, off offset:360
	;; [unrolled: 1-line block ×6, first 2 shown]
	v_add_f64_e64 v[34:35], v[136:137], -v[112:113]
	v_add_f64_e64 v[40:41], v[138:139], -v[114:115]
	s_mov_b32 s36, 0x6c9a05f6
	s_mov_b32 s10, 0x910ea3b9
	;; [unrolled: 1-line block ×6, first 2 shown]
	v_add_f64_e32 v[245:246], v[116:117], v[156:157]
	v_add_f64_e64 v[199:200], v[144:145], -v[104:105]
	v_add_f64_e32 v[197:198], v[102:103], v[150:151]
	v_add_f64_e32 v[209:210], v[96:97], v[152:153]
	s_wait_alu 0xfffe
	v_mul_f64_e32 v[2:3], s[22:23], v[223:224]
	v_mul_f64_e32 v[229:230], s[28:29], v[223:224]
	;; [unrolled: 1-line block ×4, first 2 shown]
	v_mov_b32_e32 v6, v239
	v_mov_b32_e32 v170, v240
	v_mul_f64_e32 v[8:9], s[42:43], v[223:224]
	v_mov_b32_e32 v178, v244
	s_mov_b32 s30, 0x7c9e640b
	s_mov_b32 s31, 0x3feca52d
	v_mul_f64_e32 v[233:234], s[22:23], v[221:222]
	v_mul_f64_e32 v[241:242], s[36:37], v[221:222]
	;; [unrolled: 1-line block ×3, first 2 shown]
	s_mov_b32 s16, 0x6ed5f1bb
	s_mov_b32 s17, 0xbfe348c8
	;; [unrolled: 1-line block ×5, first 2 shown]
	v_mul_f64_e32 v[185:186], s[26:27], v[219:220]
	v_mul_f64_e32 v[239:240], s[28:29], v[207:208]
	s_mov_b32 s46, s28
	v_mov_b32_e32 v81, v39
	v_add_f64_e32 v[187:188], v[118:119], v[158:159]
	v_add_f64_e64 v[84:85], v[140:141], -v[108:109]
	v_add_f64_e32 v[189:190], v[106:107], v[146:147]
	v_mul_f64_e32 v[168:169], s[42:43], v[48:49]
	v_dual_mov_b32 v69, v35 :: v_dual_mov_b32 v244, v41
	v_dual_mov_b32 v68, v34 :: v_dual_mov_b32 v243, v40
	v_mov_b32_e32 v80, v38
	s_wait_alu 0xfffe
	v_mul_f64_e32 v[158:159], s[30:31], v[40:41]
	v_mov_b32_e32 v83, v81
	v_mul_f64_e32 v[249:250], s[30:31], v[217:218]
	v_mul_f64_e32 v[56:57], s[46:47], v[217:218]
	;; [unrolled: 1-line block ×3, first 2 shown]
	s_mov_b32 s20, 0x2b2883cd
	s_mov_b32 s18, 0x75d4884
	v_fma_f64 v[235:236], v[213:214], s[0:1], v[2:3]
	v_fma_f64 v[227:228], v[213:214], s[0:1], -v[2:3]
	v_dual_mov_b32 v2, v15 :: v_dual_mov_b32 v3, v16
	v_fma_f64 v[253:254], v[213:214], s[10:11], v[229:230]
	v_fma_f64 v[50:51], v[213:214], s[16:17], v[225:226]
	v_fma_f64 v[225:226], v[213:214], s[16:17], -v[225:226]
	v_fma_f64 v[64:65], v[213:214], s[24:25], v[8:9]
	v_mul_f64_e32 v[181:182], s[54:55], v[2:3]
	v_mul_f64_e32 v[2:3], s[42:43], v[2:3]
	scratch_store_b64 off, v[13:14], off offset:388 ; 8-byte Folded Spill
	v_fma_f64 v[156:157], v[215:216], s[0:1], v[233:234]
	v_fma_f64 v[26:27], v[215:216], s[0:1], -v[233:234]
	v_fma_f64 v[12:13], v[205:206], s[2:3], v[231:232]
	v_fma_f64 v[30:31], v[205:206], s[2:3], -v[231:232]
	v_mul_f64_e32 v[231:232], s[22:23], v[40:41]
	v_mul_f64_e32 v[233:234], s[42:43], v[38:39]
	v_fma_f64 v[54:55], v[215:216], s[16:17], -v[241:242]
	v_fma_f64 v[24:25], v[209:210], s[2:3], -v[185:186]
	v_fma_f64 v[62:63], v[215:216], s[16:17], v[241:242]
	s_mov_b32 s21, 0x3fdc86fa
	s_mov_b32 s19, 0x3fe7a5f6
	;; [unrolled: 1-line block ×4, first 2 shown]
	v_add_f64_e32 v[179:180], v[110:111], v[142:143]
	v_mul_f64_e32 v[4:5], s[36:37], v[84:85]
	v_add_f64_e32 v[154:155], v[154:155], v[187:188]
	v_add_f64_e32 v[171:172], v[138:139], v[114:115]
	v_mul_f64_e32 v[0:1], s[30:31], v[34:35]
	v_mul_f64_e32 v[10:11], s[42:43], v[221:222]
	v_add_f64_e32 v[164:165], v[122:123], v[134:135]
	v_add_f64_e64 v[211:212], v[150:151], -v[102:103]
	v_mul_f64_e32 v[46:47], s[28:29], v[221:222]
	s_wait_alu 0xfffe
	v_fma_f64 v[60:61], v[205:206], s[20:21], v[249:250]
	v_mul_f64_e32 v[52:53], s[40:41], v[219:220]
	v_mul_f64_e32 v[58:59], s[46:47], v[219:220]
	v_add_f64_e64 v[203:204], v[146:147], -v[106:107]
	v_add_f64_e32 v[201:202], v[100:101], v[148:149]
	v_add_f64_e32 v[14:15], v[118:119], v[235:236]
	;; [unrolled: 1-line block ×3, first 2 shown]
	v_mul_f64_e32 v[18:19], s[30:31], v[219:220]
	v_fma_f64 v[28:29], v[213:214], s[10:11], -v[229:230]
	v_add_f64_e32 v[241:242], v[118:119], v[253:254]
	v_fma_f64 v[253:254], v[197:198], s[10:11], v[239:240]
	v_add_f64_e32 v[50:51], v[118:119], v[50:51]
	v_add_f64_e32 v[78:79], v[118:119], v[225:226]
	v_fma_f64 v[225:226], v[205:206], s[10:11], v[56:57]
	scratch_store_b64 off, v[2:3], off offset:372 ; 8-byte Folded Spill
	v_mul_f64_e32 v[2:3], s[44:45], v[48:49]
	v_add_f64_e32 v[40:41], v[116:117], v[156:157]
	v_mov_b32_e32 v157, v49
	v_add_f64_e32 v[26:27], v[116:117], v[26:27]
	v_mov_b32_e32 v156, v48
	v_mov_b32_e32 v82, v80
	v_add_f64_e32 v[64:65], v[118:119], v[64:65]
	v_add_f64_e32 v[152:153], v[152:153], v[245:246]
	s_mov_b32 s35, 0xbfefdd0d
	v_add_f64_e32 v[62:63], v[116:117], v[62:63]
	s_mov_b32 s53, 0xbfe58eea
	s_mov_b32 s34, s54
	;; [unrolled: 1-line block ×5, first 2 shown]
	v_add_f64_e64 v[237:238], v[142:143], -v[110:111]
	v_add_f64_e32 v[191:192], v[104:105], v[144:145]
	s_wait_alu 0xfffe
	v_mul_f64_e32 v[36:37], s[34:35], v[207:208]
	v_fma_f64 v[8:9], v[213:214], s[24:25], -v[8:9]
	v_fma_f64 v[66:67], v[215:216], s[24:25], -v[10:11]
	v_fma_f64 v[74:75], v[215:216], s[24:25], v[10:11]
	v_mul_f64_e32 v[20:21], s[28:29], v[211:212]
	v_fma_f64 v[22:23], v[215:216], s[10:11], -v[46:47]
	v_fma_f64 v[46:47], v[215:216], s[10:11], v[46:47]
	v_mul_f64_e32 v[245:246], s[44:45], v[211:212]
	;; [unrolled: 3-line block ×3, first 2 shown]
	v_add_f64_e32 v[14:15], v[12:13], v[14:15]
	v_add_f64_e32 v[30:31], v[30:31], v[32:33]
	v_mul_f64_e32 v[32:33], s[28:29], v[199:200]
	v_mul_f64_e32 v[44:45], s[34:35], v[211:212]
	v_add_f64_e32 v[60:61], v[60:61], v[241:242]
	v_fma_f64 v[241:242], v[209:210], s[10:11], -v[58:59]
	v_mul_f64_e32 v[12:13], s[52:53], v[68:69]
	v_add_f64_e32 v[28:29], v[118:119], v[28:29]
	v_mul_f64_e32 v[86:87], s[34:35], v[223:224]
	v_add_f64_e32 v[154:155], v[150:151], v[154:155]
	scratch_store_b64 off, v[2:3], off offset:404 ; 8-byte Folded Spill
	v_mul_f64_e32 v[2:3], s[44:45], v[38:39]
	v_fma_f64 v[38:39], v[209:210], s[2:3], v[185:186]
	v_add_f64_e32 v[24:25], v[24:25], v[26:27]
	v_fma_f64 v[26:27], v[205:206], s[20:21], -v[249:250]
	v_fma_f64 v[249:250], v[197:198], s[10:11], -v[239:240]
	v_mul_f64_e32 v[239:240], s[38:39], v[207:208]
	v_add_f64_e32 v[64:65], v[225:226], v[64:65]
	s_mov_b32 s14, 0x3259b75e
	s_mov_b32 s15, 0x3fb79ee6
	;; [unrolled: 1-line block ×4, first 2 shown]
	v_add_f64_e32 v[183:184], v[108:109], v[140:141]
	v_mul_f64_e32 v[229:230], s[22:23], v[34:35]
	s_wait_alu 0xfffe
	v_mul_f64_e32 v[34:35], s[50:51], v[199:200]
	v_mul_f64_e32 v[251:252], s[36:37], v[237:238]
	;; [unrolled: 1-line block ×3, first 2 shown]
	v_fma_f64 v[56:57], v[205:206], s[10:11], -v[56:57]
	v_add_f64_e32 v[8:9], v[118:119], v[8:9]
	v_add_f64_e32 v[66:67], v[116:117], v[66:67]
	v_fma_f64 v[58:59], v[209:210], s[10:11], v[58:59]
	v_fma_f64 v[70:71], v[201:202], s[10:11], -v[20:21]
	v_add_f64_e32 v[22:23], v[116:117], v[22:23]
	v_add_f64_e32 v[46:47], v[116:117], v[46:47]
	;; [unrolled: 1-line block ×5, first 2 shown]
	v_mul_f64_e32 v[62:63], s[48:49], v[203:204]
	v_add_f64_e32 v[14:15], v[253:254], v[14:15]
	v_fma_f64 v[253:254], v[189:190], s[18:19], v[247:248]
	v_fma_f64 v[80:81], v[189:190], s[10:11], v[32:33]
	v_fma_f64 v[247:248], v[189:190], s[18:19], -v[247:248]
	v_add_f64_e32 v[175:176], v[136:137], v[112:113]
	v_mul_f64_e32 v[227:228], s[38:39], v[237:238]
	v_mov_b32_e32 v10, v156
	v_add_f64_e32 v[160:161], v[126:127], v[130:131]
	v_fma_f64 v[148:149], v[213:214], s[14:15], v[86:87]
	v_add_f64_e32 v[146:147], v[146:147], v[154:155]
	v_add_f64_e32 v[166:167], v[120:121], v[132:133]
	scratch_store_b64 off, v[2:3], off offset:396 ; 8-byte Folded Spill
	v_mul_f64_e32 v[2:3], s[22:23], v[48:49]
	v_mul_f64_e32 v[48:49], s[40:41], v[217:218]
	v_add_f64_e32 v[38:39], v[38:39], v[40:41]
	v_mul_f64_e32 v[40:41], s[44:45], v[207:208]
	v_add_f64_e32 v[249:250], v[249:250], v[30:31]
	v_add_f64_e32 v[28:29], v[26:27], v[28:29]
	v_fma_f64 v[26:27], v[201:202], s[14:15], -v[44:45]
	v_fma_f64 v[44:45], v[201:202], s[14:15], v[44:45]
	v_mul_f64_e32 v[30:31], s[22:23], v[217:218]
	v_fma_f64 v[32:33], v[189:190], s[10:11], -v[32:33]
	v_mul_f64_e32 v[72:73], s[38:39], v[211:212]
	v_add_f64_e32 v[54:55], v[116:117], v[54:55]
	v_fma_f64 v[20:21], v[201:202], s[10:11], v[20:21]
	v_mul_f64_e32 v[185:186], s[54:55], v[84:85]
	v_mul_f64_e32 v[235:236], s[38:39], v[84:85]
	v_add_f64_e32 v[162:163], v[124:125], v[128:129]
	v_add_f64_e32 v[56:57], v[56:57], v[8:9]
	;; [unrolled: 1-line block ×3, first 2 shown]
	v_fma_f64 v[241:242], v[201:202], s[18:19], -v[245:246]
	v_add_f64_e32 v[70:71], v[70:71], v[24:25]
	v_fma_f64 v[24:25], v[197:198], s[14:15], v[36:37]
	v_fma_f64 v[36:37], v[197:198], s[14:15], -v[36:37]
	v_fma_f64 v[8:9], v[183:184], s[16:17], -v[251:252]
	v_add_f64_e32 v[74:75], v[58:59], v[74:75]
	v_mul_f64_e32 v[58:59], s[40:41], v[207:208]
	v_fma_f64 v[245:246], v[201:202], s[18:19], v[245:246]
	v_fma_f64 v[251:252], v[183:184], s[16:17], v[251:252]
	v_add_f64_e32 v[14:15], v[253:254], v[14:15]
	v_fma_f64 v[253:254], v[179:180], s[16:17], v[4:5]
	v_fma_f64 v[4:5], v[179:180], s[16:17], -v[4:5]
	v_add_f64_e32 v[152:153], v[144:145], v[152:153]
	v_mul_f64_e32 v[150:151], s[52:53], v[243:244]
	v_mul_f64_e32 v[144:145], s[48:49], v[84:85]
	v_mov_b32_e32 v11, v157
	v_add_f64_e32 v[148:149], v[118:119], v[148:149]
	v_fma_f64 v[187:188], v[205:206], s[24:25], v[48:49]
	v_fma_f64 v[48:49], v[205:206], s[24:25], -v[48:49]
	v_fma_f64 v[225:226], v[197:198], s[18:19], v[40:41]
	v_add_f64_e32 v[249:250], v[247:248], v[249:250]
	v_fma_f64 v[40:41], v[197:198], s[18:19], -v[40:41]
	v_add_f64_e32 v[54:55], v[76:77], v[54:55]
	v_fma_f64 v[76:77], v[201:202], s[2:3], -v[72:73]
	v_add_f64_e32 v[20:21], v[20:21], v[38:39]
	v_fma_f64 v[72:73], v[201:202], s[2:3], v[72:73]
	v_add_f64_e32 v[66:67], v[241:242], v[66:67]
	v_fma_f64 v[241:242], v[175:176], s[20:21], -v[158:159]
	v_add_f64_e32 v[60:61], v[24:25], v[60:61]
	v_fma_f64 v[24:25], v[189:190], s[16:17], v[34:35]
	v_add_f64_e32 v[28:29], v[36:37], v[28:29]
	v_fma_f64 v[34:35], v[189:190], s[16:17], -v[34:35]
	v_fma_f64 v[36:37], v[205:206], s[0:1], v[30:31]
	v_fma_f64 v[154:155], v[197:198], s[24:25], v[58:59]
	v_fma_f64 v[30:31], v[205:206], s[0:1], -v[30:31]
	v_fma_f64 v[58:59], v[197:198], s[24:25], -v[58:59]
	v_add_f64_e32 v[14:15], v[253:254], v[14:15]
	v_add_f64_e32 v[50:51], v[187:188], v[50:51]
	v_fma_f64 v[187:188], v[197:198], s[2:3], v[239:240]
	v_add_f64_e32 v[64:65], v[225:226], v[64:65]
	v_fma_f64 v[225:226], v[171:172], s[20:21], v[0:1]
	v_fma_f64 v[239:240], v[197:198], s[2:3], -v[239:240]
	v_add_f64_e32 v[48:49], v[48:49], v[78:79]
	v_fma_f64 v[0:1], v[171:172], s[20:21], -v[0:1]
	v_add_f64_e32 v[4:5], v[4:5], v[249:250]
	v_add_f64_e32 v[40:41], v[40:41], v[56:57]
	v_mul_f64_e32 v[78:79], s[48:49], v[199:200]
	v_add_f64_e32 v[54:55], v[76:77], v[54:55]
	v_add_f64_e32 v[52:53], v[72:73], v[52:53]
	v_mul_f64_e32 v[72:73], s[22:23], v[237:238]
	v_add_f64_e32 v[24:25], v[24:25], v[60:61]
	v_fma_f64 v[60:61], v[179:180], s[2:3], v[235:236]
	v_add_f64_e32 v[28:29], v[34:35], v[28:29]
	v_fma_f64 v[34:35], v[183:184], s[2:3], v[227:228]
	v_add_f64_e32 v[36:37], v[36:37], v[148:149]
	v_fma_f64 v[148:149], v[179:180], s[2:3], -v[235:236]
	v_add_f64_e32 v[50:51], v[187:188], v[50:51]
	v_add_f64_e32 v[14:15], v[225:226], v[14:15]
	v_mov_b32_e32 v226, v85
	v_add_f64_e32 v[48:49], v[239:240], v[48:49]
	v_fma_f64 v[239:240], v[191:192], s[20:21], -v[62:63]
	v_add_f64_e32 v[0:1], v[0:1], v[4:5]
	v_add_f64_e32 v[4:5], v[142:143], v[146:147]
	v_fma_f64 v[62:63], v[191:192], s[20:21], v[62:63]
	v_fma_f64 v[142:143], v[166:167], s[24:25], v[233:234]
	v_fma_f64 v[146:147], v[171:172], s[0:1], -v[229:230]
	v_mov_b32_e32 v225, v84
	v_add_f64_e32 v[24:25], v[60:61], v[24:25]
	v_fma_f64 v[60:61], v[175:176], s[0:1], -v[231:232]
	v_add_f64_e32 v[36:37], v[154:155], v[36:37]
	scratch_load_b64 v[154:155], off, off offset:388 th:TH_LOAD_LU ; 8-byte Folded Reload
	v_add_f64_e32 v[28:29], v[148:149], v[28:29]
	v_fma_f64 v[148:149], v[175:176], s[18:19], -v[150:151]
	v_add_f64_e32 v[50:51], v[80:81], v[50:51]
	v_fma_f64 v[80:81], v[164:165], s[24:25], v[168:169]
	v_add_f64_e32 v[32:33], v[32:33], v[48:49]
	v_add_f64_e32 v[66:67], v[239:240], v[66:67]
	v_mov_b32_e32 v239, v6
	v_fma_f64 v[6:7], v[164:165], s[24:25], -v[168:169]
	v_fma_f64 v[48:49], v[166:167], s[24:25], -v[233:234]
	v_mul_f64_e32 v[247:248], s[38:39], v[10:11]
	v_mov_b32_e32 v240, v170
	v_mul_f64_e32 v[169:170], s[48:49], v[211:212]
	v_or_b32_e32 v168, 0x140, v255
	v_add_f64_e32 v[28:29], v[146:147], v[28:29]
	v_add_f64_e32 v[14:15], v[80:81], v[14:15]
	scratch_store_b64 off, v[2:3], off offset:380 ; 8-byte Folded Spill
	v_dual_mov_b32 v2, v68 :: v_dual_mov_b32 v3, v69
	v_fma_f64 v[68:69], v[209:210], s[20:21], -v[18:19]
	v_fma_f64 v[18:19], v[209:210], s[20:21], v[18:19]
	v_add_f64_e32 v[253:254], v[6:7], v[0:1]
	v_add_f64_e32 v[0:1], v[138:139], v[4:5]
	s_clause 0x1
	scratch_load_b64 v[4:5], off, off offset:380 th:TH_LOAD_LU
	scratch_load_b64 v[80:81], off, off offset:372 th:TH_LOAD_LU
	v_mov_b32_e32 v157, v3
	scratch_store_b64 off, v[82:83], off offset:460 ; 8-byte Folded Spill
	v_mul_f64_e32 v[38:39], s[22:23], v[82:83]
	v_mul_f64_e32 v[187:188], s[38:39], v[82:83]
	v_fma_f64 v[82:83], v[189:190], s[20:21], v[78:79]
	v_mov_b32_e32 v156, v2
	v_fma_f64 v[2:3], v[175:176], s[20:21], v[158:159]
	v_dual_mov_b32 v158, v243 :: v_dual_mov_b32 v159, v244
	v_fma_f64 v[78:79], v[189:190], s[20:21], -v[78:79]
	scratch_store_b64 off, v[14:15], off offset:436 ; 8-byte Folded Spill
	v_add_f64_e32 v[68:69], v[68:69], v[22:23]
	v_fma_f64 v[22:23], v[191:192], s[18:19], -v[16:17]
	v_add_f64_e32 v[18:19], v[18:19], v[46:47]
	v_mul_f64_e32 v[46:47], s[28:29], v[203:204]
	v_fma_f64 v[16:17], v[191:192], s[18:19], v[16:17]
	v_add_f64_e32 v[64:65], v[82:83], v[64:65]
	v_fma_f64 v[82:83], v[183:184], s[0:1], -v[72:73]
	v_add_f64_e32 v[40:41], v[78:79], v[40:41]
	v_fma_f64 v[78:79], v[166:167], s[2:3], -v[187:188]
	v_add_f64_e32 v[68:69], v[26:27], v[68:69]
	v_add_f64_e32 v[70:71], v[22:23], v[70:71]
	v_fma_f64 v[26:27], v[191:192], s[16:17], -v[42:43]
	v_fma_f64 v[42:43], v[191:192], s[16:17], v[42:43]
	v_add_f64_e32 v[18:19], v[44:45], v[18:19]
	v_fma_f64 v[76:77], v[191:192], s[10:11], -v[46:47]
	v_mul_f64_e32 v[22:23], s[54:55], v[237:238]
	v_add_f64_e32 v[16:17], v[16:17], v[20:21]
	v_fma_f64 v[46:47], v[191:192], s[10:11], v[46:47]
	v_mul_f64_e32 v[44:45], s[22:23], v[84:85]
	v_mul_f64_e32 v[20:21], s[54:55], v[156:157]
	v_add_f64_e32 v[66:67], v[82:83], v[66:67]
	v_mul_f64_e32 v[82:83], s[36:37], v[211:212]
	v_add_f64_e32 v[70:71], v[8:9], v[70:71]
	v_add_f64_e32 v[26:27], v[26:27], v[68:69]
	v_fma_f64 v[68:69], v[183:184], s[2:3], -v[227:228]
	v_add_f64_e32 v[18:19], v[42:43], v[18:19]
	v_mul_f64_e32 v[8:9], s[26:27], v[199:200]
	v_fma_f64 v[227:228], v[179:180], s[14:15], v[185:186]
	v_add_f64_e32 v[54:55], v[76:77], v[54:55]
	v_fma_f64 v[76:77], v[179:180], s[14:15], -v[185:186]
	v_add_f64_e32 v[16:17], v[251:252], v[16:17]
	v_mul_f64_e32 v[42:43], s[54:55], v[243:244]
	v_fma_f64 v[235:236], v[183:184], s[14:15], -v[22:23]
	v_fma_f64 v[22:23], v[183:184], s[14:15], v[22:23]
	v_add_f64_e32 v[46:47], v[46:47], v[52:53]
	v_add_f64_e64 v[251:252], v[130:131], -v[126:127]
	scratch_load_b32 v243, off, off offset:352 ; 4-byte Folded Reload
	v_fma_f64 v[185:186], v[179:180], s[0:1], v[44:45]
	v_fma_f64 v[44:45], v[179:180], s[0:1], -v[44:45]
	v_fma_f64 v[52:53], v[171:172], s[0:1], v[229:230]
	v_add_f64_e32 v[56:57], v[241:242], v[70:71]
	v_add_f64_e32 v[70:71], v[245:246], v[74:75]
	v_add_f64_e32 v[26:27], v[68:69], v[26:27]
	v_add_f64_e32 v[18:19], v[34:35], v[18:19]
	v_fma_f64 v[34:35], v[160:161], s[14:15], v[181:182]
	v_fma_f64 v[74:75], v[189:190], s[2:3], v[8:9]
	v_add_f64_e32 v[50:51], v[227:228], v[50:51]
	v_add_f64_e32 v[32:33], v[76:77], v[32:33]
	;; [unrolled: 1-line block ×3, first 2 shown]
	v_fma_f64 v[152:153], v[175:176], s[14:15], -v[42:43]
	v_add_f64_e32 v[2:3], v[2:3], v[16:17]
	v_add_f64_e32 v[54:55], v[235:236], v[54:55]
	;; [unrolled: 1-line block ×3, first 2 shown]
	v_fma_f64 v[46:47], v[160:161], s[14:15], -v[181:182]
	v_add_f64_e64 v[181:182], v[128:129], -v[124:125]
	v_mov_b32_e32 v244, v178
	scratch_load_b32 v178, off, off offset:364 ; 4-byte Folded Reload
	v_fma_f64 v[76:77], v[175:176], s[18:19], v[150:151]
	v_fma_f64 v[150:151], v[171:172], s[14:15], v[20:21]
	v_add_f64_e32 v[64:65], v[185:186], v[64:65]
	v_mul_f64_e32 v[138:139], s[36:37], v[251:252]
	v_fma_f64 v[16:17], v[175:176], s[0:1], v[231:232]
	v_fma_f64 v[20:21], v[171:172], s[14:15], -v[20:21]
	v_add_f64_e32 v[40:41], v[44:45], v[40:41]
	v_add_f64_e32 v[44:45], v[134:135], v[0:1]
	;; [unrolled: 1-line block ×3, first 2 shown]
	v_mul_f64_e32 v[52:53], s[42:43], v[251:252]
	v_mul_f64_e32 v[140:141], s[28:29], v[156:157]
	v_fma_f64 v[42:43], v[175:176], s[14:15], v[42:43]
	v_fma_f64 v[8:9], v[189:190], s[2:3], -v[8:9]
	v_add_f64_e32 v[14:15], v[48:49], v[56:57]
	v_add_f64_e32 v[48:49], v[62:63], v[70:71]
	scratch_load_b64 v[70:71], off, off offset:396 th:TH_LOAD_LU ; 8-byte Folded Reload
	v_add_f64_e32 v[26:27], v[60:61], v[26:27]
	scratch_store_b64 off, v[34:35], off offset:452 ; 8-byte Folded Spill
	v_fma_f64 v[34:35], v[171:172], s[18:19], v[12:13]
	v_fma_f64 v[12:13], v[171:172], s[18:19], -v[12:13]
	v_add_f64_e32 v[36:37], v[74:75], v[36:37]
	v_add_f64_e32 v[60:61], v[136:137], v[68:69]
	;; [unrolled: 1-line block ×4, first 2 shown]
	v_mul_f64_e32 v[136:137], s[50:51], v[10:11]
	v_fma_f64 v[62:63], v[179:180], s[20:21], v[144:145]
	v_add_f64_e32 v[54:55], v[148:149], v[54:55]
	v_fma_f64 v[142:143], v[166:167], s[2:3], v[187:188]
	v_mul_f64_e32 v[187:188], s[26:27], v[203:204]
	v_add_f64_e32 v[22:23], v[76:77], v[22:23]
	v_fma_f64 v[76:77], v[164:165], s[2:3], v[247:248]
	v_add_f64_e32 v[64:65], v[150:151], v[64:65]
	v_add_f64_e32 v[16:17], v[16:17], v[18:19]
	v_mul_f64_e32 v[18:19], s[30:31], v[181:182]
	v_fma_f64 v[229:230], v[162:163], s[24:25], -v[52:53]
	v_add_f64_e32 v[34:35], v[34:35], v[50:51]
	v_mul_f64_e32 v[50:51], s[30:31], v[251:252]
	v_add_f64_e32 v[12:13], v[12:13], v[32:33]
	v_fma_f64 v[32:33], v[166:167], s[0:1], v[38:39]
	v_add_f64_e32 v[36:37], v[62:63], v[36:37]
	v_fma_f64 v[249:250], v[160:161], s[20:21], -v[18:19]
	s_wait_loadcnt 0x5
	v_fma_f64 v[84:85], v[162:163], s[14:15], -v[154:155]
	v_fma_f64 v[235:236], v[162:163], s[14:15], v[154:155]
	v_mul_f64_e32 v[154:155], s[36:37], v[181:182]
	s_wait_loadcnt 0x4
	v_fma_f64 v[74:75], v[164:165], s[0:1], -v[4:5]
	s_wait_loadcnt 0x3
	v_fma_f64 v[245:246], v[160:161], s[24:25], v[80:81]
	v_fma_f64 v[227:228], v[160:161], s[24:25], -v[80:81]
	v_mul_f64_e32 v[80:81], s[36:37], v[207:208]
	s_delay_alu instid0(VALU_DEP_4)
	v_add_f64_e32 v[152:153], v[74:75], v[12:13]
	v_fma_f64 v[12:13], v[162:163], s[20:21], v[50:51]
	s_wait_loadcnt 0x0
	v_fma_f64 v[56:57], v[166:167], s[18:19], -v[70:71]
	v_fma_f64 v[2:3], v[166:167], s[18:19], v[70:71]
	v_fma_f64 v[70:71], v[164:165], s[0:1], v[4:5]
	v_dual_mov_b32 v4, v10 :: v_dual_mov_b32 v5, v11
	v_fma_f64 v[10:11], v[160:161], s[16:17], v[154:155]
	s_clause 0x1
	scratch_store_b64 off, v[12:13], off offset:396
	scratch_store_b64 off, v[84:85], off offset:420
	scratch_load_b64 v[84:85], off, off offset:404 th:TH_LOAD_LU ; 8-byte Folded Reload
	v_add_f64_e32 v[12:13], v[32:33], v[22:23]
	v_add_f64_e32 v[22:23], v[76:77], v[64:65]
	v_mul_f64_e32 v[32:33], s[36:37], v[219:220]
	v_mul_f64_e32 v[64:65], s[48:49], v[237:238]
	v_add_f64_e32 v[185:186], v[56:57], v[26:27]
	v_mul_f64_e32 v[26:27], s[52:53], v[223:224]
	v_mul_f64_e32 v[56:57], s[38:39], v[223:224]
	v_add_f64_e32 v[0:1], v[2:3], v[16:17]
	v_mul_f64_e32 v[16:17], s[52:53], v[221:222]
	scratch_store_b64 off, v[10:11], off offset:412 ; 8-byte Folded Spill
	v_fma_f64 v[10:11], v[213:214], s[14:15], -v[86:87]
	scratch_load_b64 v[86:87], off, off offset:460 th:TH_LOAD_LU ; 8-byte Folded Reload
	v_mov_b32_e32 v6, v156
	s_clause 0x1
	scratch_store_b64 off, v[12:13], off offset:404
	scratch_store_b64 off, v[22:23], off offset:372
	v_fma_f64 v[22:23], v[162:163], s[16:17], -v[138:139]
	scratch_store_b64 off, v[46:47], off offset:428 ; 8-byte Folded Spill
	v_mov_b32_e32 v7, v157
	v_fma_f64 v[156:157], v[164:165], s[2:3], -v[247:248]
	v_add_f64_e32 v[247:248], v[20:21], v[40:41]
	v_add_f64_e32 v[40:41], v[130:131], v[44:45]
	v_mul_f64_e32 v[12:13], s[22:23], v[219:220]
	v_add_f64_e32 v[146:147], v[70:71], v[34:35]
	v_fma_f64 v[2:3], v[162:163], s[20:21], -v[50:51]
	v_mul_f64_e32 v[34:35], s[34:35], v[217:218]
	v_fma_f64 v[76:77], v[209:210], s[16:17], v[32:33]
	v_fma_f64 v[32:33], v[209:210], s[16:17], -v[32:33]
	v_mul_f64_e32 v[62:63], s[28:29], v[158:159]
	v_fma_f64 v[44:45], v[213:214], s[2:3], -v[56:57]
	v_fma_f64 v[56:57], v[213:214], s[2:3], v[56:57]
	v_add_f64_e32 v[10:11], v[118:119], v[10:11]
	scratch_store_b64 off, v[22:23], off offset:380 ; 8-byte Folded Spill
	v_add_f64_e32 v[22:23], v[78:79], v[66:67]
	scratch_store_b64 off, v[14:15], off offset:444 ; 8-byte Folded Spill
	v_fma_f64 v[14:15], v[183:184], s[0:1], v[72:73]
	v_fma_f64 v[72:73], v[166:167], s[0:1], -v[38:39]
	v_mul_f64_e32 v[38:39], s[34:35], v[221:222]
	v_add_f64_e32 v[40:41], v[126:127], v[40:41]
	v_mul_f64_e32 v[66:67], s[40:41], v[211:212]
	v_fma_f64 v[78:79], v[205:206], s[14:15], -v[34:35]
	v_fma_f64 v[34:35], v[205:206], s[14:15], v[34:35]
	v_add_f64_e32 v[44:45], v[118:119], v[44:45]
	v_add_f64_e32 v[56:57], v[118:119], v[56:57]
	;; [unrolled: 1-line block ×3, first 2 shown]
	scratch_store_b64 off, v[22:23], off offset:388 ; 8-byte Folded Spill
	v_add_f64_e32 v[14:15], v[14:15], v[48:49]
	v_fma_f64 v[48:49], v[171:172], s[10:11], v[140:141]
	v_add_f64_e32 v[241:242], v[72:73], v[54:55]
	v_fma_f64 v[20:21], v[215:216], s[14:15], v[38:39]
	v_fma_f64 v[54:55], v[215:216], s[18:19], v[16:17]
	v_fma_f64 v[16:17], v[215:216], s[18:19], -v[16:17]
	v_add_f64_e32 v[40:41], v[122:123], v[40:41]
	v_fma_f64 v[30:31], v[201:202], s[24:25], v[66:67]
	v_mul_f64_e32 v[122:123], s[34:35], v[199:200]
	v_add_f64_e32 v[10:11], v[58:59], v[10:11]
	v_fma_f64 v[58:59], v[191:192], s[2:3], v[187:188]
	v_add_f64_e32 v[134:135], v[42:43], v[14:15]
	v_mul_f64_e32 v[14:15], s[36:37], v[217:218]
	v_add_f64_e32 v[130:131], v[48:49], v[36:37]
	v_mul_f64_e32 v[36:37], s[52:53], v[217:218]
	v_mul_f64_e32 v[48:49], s[52:53], v[219:220]
	v_add_f64_e32 v[20:21], v[116:117], v[20:21]
	v_add_f64_e32 v[54:55], v[116:117], v[54:55]
	;; [unrolled: 1-line block ×4, first 2 shown]
	v_mul_f64_e32 v[217:218], s[44:45], v[251:252]
	v_add_f64_e32 v[8:9], v[8:9], v[10:11]
	v_fma_f64 v[10:11], v[183:184], s[20:21], v[64:65]
	v_fma_f64 v[74:75], v[205:206], s[16:17], -v[14:15]
	v_fma_f64 v[14:15], v[205:206], s[16:17], v[14:15]
	v_fma_f64 v[126:127], v[205:206], s[18:19], -v[36:37]
	v_fma_f64 v[150:151], v[209:210], s[18:19], v[48:49]
	v_fma_f64 v[36:37], v[205:206], s[18:19], v[36:37]
	v_fma_f64 v[48:49], v[209:210], s[18:19], -v[48:49]
	v_mul_f64_e32 v[205:206], s[22:23], v[203:204]
	v_add_f64_e32 v[40:41], v[110:111], v[40:41]
	v_add_f64_e32 v[44:45], v[126:127], v[44:45]
	v_mul_f64_e32 v[126:127], s[34:35], v[203:204]
	v_add_f64_e32 v[36:37], v[36:37], v[56:57]
	v_fma_f64 v[56:57], v[201:202], s[20:21], -v[169:170]
	v_add_f64_e32 v[40:41], v[106:107], v[40:41]
	v_dual_mov_b32 v106, v251 :: v_dual_mov_b32 v107, v252
	v_mul_f64_e32 v[110:111], s[28:29], v[4:5]
	s_delay_alu instid0(VALU_DEP_3) | instskip(NEXT) | instid1(VALU_DEP_1)
	v_add_f64_e32 v[40:41], v[102:103], v[40:41]
	v_add_f64_e32 v[40:41], v[98:99], v[40:41]
	s_wait_loadcnt 0x1
	v_fma_f64 v[46:47], v[164:165], s[18:19], v[84:85]
	v_fma_f64 v[68:69], v[164:165], s[18:19], -v[84:85]
	s_delay_alu instid0(VALU_DEP_2) | instskip(SKIP_2) | instid1(VALU_DEP_4)
	v_add_f64_e32 v[231:232], v[46:47], v[24:25]
	v_mul_f64_e32 v[24:25], s[48:49], v[223:224]
	v_add_f64_e32 v[46:47], v[132:133], v[60:61]
	v_add_f64_e32 v[84:85], v[68:69], v[28:29]
	v_fma_f64 v[223:224], v[162:163], s[24:25], v[52:53]
	v_mul_f64_e32 v[28:29], s[38:39], v[221:222]
	v_mul_f64_e32 v[52:53], s[48:49], v[221:222]
	v_fma_f64 v[221:222], v[160:161], s[20:21], v[18:19]
	v_fma_f64 v[18:19], v[215:216], s[14:15], -v[38:39]
	v_fma_f64 v[38:39], v[213:214], s[18:19], -v[26:27]
	v_fma_f64 v[26:27], v[213:214], s[18:19], v[26:27]
	v_fma_f64 v[68:69], v[209:210], s[0:1], -v[12:13]
	v_fma_f64 v[12:13], v[209:210], s[0:1], v[12:13]
	v_mul_f64_e32 v[132:133], s[44:45], v[181:182]
	v_add_f64_e32 v[102:103], v[245:246], v[231:232]
	v_fma_f64 v[22:23], v[213:214], s[20:21], -v[24:25]
	v_add_f64_e32 v[42:43], v[128:129], v[46:47]
	v_mul_f64_e32 v[46:47], s[34:35], v[219:220]
	v_fma_f64 v[24:25], v[213:214], s[20:21], v[24:25]
	v_fma_f64 v[50:51], v[215:216], s[2:3], v[28:29]
	;; [unrolled: 1-line block ×3, first 2 shown]
	v_fma_f64 v[52:53], v[215:216], s[20:21], -v[52:53]
	v_add_f64_e32 v[18:19], v[116:117], v[18:19]
	v_fma_f64 v[28:29], v[215:216], s[2:3], -v[28:29]
	s_wait_loadcnt 0x0
	v_mul_f64_e32 v[219:220], s[50:51], v[86:87]
	s_mov_b32 s51, 0x3fc7851a
	s_mov_b32 s50, s22
	v_add_f64_e32 v[38:39], v[118:119], v[38:39]
	s_wait_alu 0xfffe
	v_mul_f64_e32 v[70:71], s[50:51], v[207:208]
	v_mul_f64_e32 v[72:73], s[50:51], v[211:212]
	v_add_f64_e32 v[26:27], v[118:119], v[26:27]
	v_add_f64_e32 v[12:13], v[12:13], v[20:21]
	v_fma_f64 v[128:129], v[164:165], s[16:17], v[136:137]
	v_add_f64_e32 v[98:99], v[221:222], v[146:147]
	v_add_f64_e32 v[22:23], v[118:119], v[22:23]
	;; [unrolled: 1-line block ×3, first 2 shown]
	v_mul_f64_e32 v[124:125], s[48:49], v[207:208]
	v_fma_f64 v[148:149], v[209:210], s[14:15], v[46:47]
	v_add_f64_e32 v[50:51], v[116:117], v[50:51]
	v_add_f64_e32 v[60:61], v[116:117], v[60:61]
	;; [unrolled: 1-line block ×4, first 2 shown]
	v_fma_f64 v[46:47], v[209:210], s[14:15], -v[46:47]
	v_add_f64_e32 v[28:29], v[116:117], v[28:29]
	v_fma_f64 v[116:117], v[201:202], s[24:25], -v[66:67]
	v_add_f64_e32 v[18:19], v[68:69], v[18:19]
	v_mul_f64_e32 v[66:67], s[40:41], v[199:200]
	v_mul_f64_e32 v[68:69], s[40:41], v[203:204]
	v_fma_f64 v[118:119], v[197:198], s[0:1], -v[70:71]
	v_add_f64_e32 v[38:39], v[78:79], v[38:39]
	v_fma_f64 v[78:79], v[197:198], s[16:17], -v[80:81]
	v_fma_f64 v[203:204], v[201:202], s[16:17], v[82:83]
	v_add_f64_e32 v[26:27], v[34:35], v[26:27]
	v_fma_f64 v[20:21], v[197:198], s[0:1], v[70:71]
	v_fma_f64 v[34:35], v[201:202], s[16:17], -v[82:83]
	v_mul_f64_e32 v[82:83], s[46:47], v[225:226]
	v_add_f64_e32 v[12:13], v[30:31], v[12:13]
	v_add_f64_e32 v[22:23], v[74:75], v[22:23]
	v_mul_f64_e32 v[74:75], s[22:23], v[199:200]
	v_add_f64_e32 v[42:43], v[120:121], v[42:43]
	v_add_f64_e32 v[54:55], v[148:149], v[54:55]
	v_fma_f64 v[120:121], v[201:202], s[0:1], v[72:73]
	v_add_f64_e32 v[60:61], v[76:77], v[60:61]
	v_add_f64_e32 v[14:15], v[14:15], v[24:25]
	v_fma_f64 v[24:25], v[201:202], s[0:1], -v[72:73]
	v_add_f64_e32 v[32:33], v[32:33], v[52:53]
	v_fma_f64 v[52:53], v[197:198], s[16:17], v[80:81]
	v_add_f64_e32 v[16:17], v[46:47], v[16:17]
	v_fma_f64 v[46:47], v[197:198], s[20:21], v[124:125]
	v_add_f64_e32 v[28:29], v[48:49], v[28:29]
	v_fma_f64 v[48:49], v[191:192], s[2:3], -v[187:188]
	v_add_f64_e32 v[18:19], v[116:117], v[18:19]
	v_fma_f64 v[76:77], v[189:190], s[24:25], -v[66:67]
	v_mul_f64_e32 v[116:117], s[46:47], v[237:238]
	v_add_f64_e32 v[38:39], v[78:79], v[38:39]
	v_fma_f64 v[78:79], v[191:192], s[0:1], v[205:206]
	v_mul_f64_e32 v[72:73], s[44:45], v[237:238]
	v_fma_f64 v[80:81], v[191:192], s[24:25], v[68:69]
	v_fma_f64 v[114:115], v[179:180], s[10:11], -v[82:83]
	v_fma_f64 v[30:31], v[189:190], s[24:25], v[66:67]
	v_mul_f64_e32 v[66:67], s[38:39], v[158:159]
	v_add_f64_e32 v[12:13], v[58:59], v[12:13]
	v_fma_f64 v[199:200], v[197:198], s[20:21], -v[124:125]
	v_add_f64_e32 v[50:51], v[150:151], v[50:51]
	v_fma_f64 v[150:151], v[201:202], s[20:21], v[169:170]
	v_fma_f64 v[169:170], v[189:190], s[14:15], -v[122:123]
	v_fma_f64 v[187:188], v[191:192], s[14:15], v[126:127]
	v_mul_f64_e32 v[148:149], s[42:43], v[237:238]
	v_add_f64_e32 v[22:23], v[118:119], v[22:23]
	v_fma_f64 v[118:119], v[189:190], s[0:1], -v[74:75]
	v_add_f64_e32 v[42:43], v[112:113], v[42:43]
	v_add_f64_e32 v[54:55], v[203:204], v[54:55]
	v_mul_f64_e32 v[112:113], s[40:41], v[158:159]
	v_add_f64_e32 v[60:61], v[120:121], v[60:61]
	v_add_f64_e32 v[14:15], v[20:21], v[14:15]
	v_fma_f64 v[20:21], v[191:192], s[24:25], -v[68:69]
	v_add_f64_e32 v[24:25], v[24:25], v[32:33]
	v_fma_f64 v[32:33], v[189:190], s[0:1], v[74:75]
	v_add_f64_e32 v[26:27], v[52:53], v[26:27]
	v_add_f64_e32 v[36:37], v[46:47], v[36:37]
	v_fma_f64 v[46:47], v[191:192], s[14:15], -v[126:127]
	v_add_f64_e32 v[28:29], v[56:57], v[28:29]
	v_add_f64_e32 v[18:19], v[48:49], v[18:19]
	v_fma_f64 v[48:49], v[179:180], s[20:21], -v[144:145]
	v_fma_f64 v[56:57], v[183:184], s[20:21], -v[64:65]
	;; [unrolled: 1-line block ×3, first 2 shown]
	v_add_f64_e32 v[16:17], v[34:35], v[16:17]
	v_fma_f64 v[74:75], v[183:184], s[18:19], v[72:73]
	v_fma_f64 v[34:35], v[189:190], s[14:15], v[122:123]
	v_mul_f64_e32 v[122:123], s[36:37], v[158:159]
	v_add_f64_e32 v[10:11], v[10:11], v[12:13]
	v_add_f64_e32 v[44:45], v[199:200], v[44:45]
	;; [unrolled: 1-line block ×3, first 2 shown]
	v_fma_f64 v[144:145], v[183:184], s[24:25], v[148:149]
	v_add_f64_e32 v[22:23], v[76:77], v[22:23]
	v_add_f64_e32 v[38:39], v[118:119], v[38:39]
	v_fma_f64 v[118:119], v[183:184], s[10:11], v[116:117]
	v_add_f64_e32 v[54:55], v[78:79], v[54:55]
	v_mul_f64_e32 v[78:79], s[30:31], v[4:5]
	v_add_f64_e32 v[42:43], v[108:109], v[42:43]
	v_fma_f64 v[108:109], v[175:176], s[24:25], v[112:113]
	v_add_f64_e32 v[60:61], v[80:81], v[60:61]
	v_add_f64_e32 v[20:21], v[20:21], v[24:25]
	v_fma_f64 v[24:25], v[179:180], s[10:11], v[82:83]
	v_add_f64_e32 v[26:27], v[32:33], v[26:27]
	v_fma_f64 v[32:33], v[183:184], s[10:11], -v[116:117]
	v_mov_b32_e32 v117, v87
	v_mul_f64_e32 v[64:65], s[38:39], v[6:7]
	v_mul_f64_e32 v[76:77], s[40:41], v[6:7]
	;; [unrolled: 1-line block ×3, first 2 shown]
	v_add_f64_e32 v[28:29], v[46:47], v[28:29]
	v_fma_f64 v[46:47], v[175:176], s[10:11], -v[62:63]
	v_add_f64_e32 v[8:9], v[48:49], v[8:9]
	v_fma_f64 v[48:49], v[175:176], s[10:11], v[62:63]
	v_mul_f64_e32 v[62:63], s[34:35], v[4:5]
	s_clause 0x1
	scratch_load_b64 v[4:5], off, off offset:436 th:TH_LOAD_LU
	scratch_load_b64 v[6:7], off, off offset:452 th:TH_LOAD_LU
	v_dual_mov_b32 v82, v86 :: v_dual_mov_b32 v83, v87
	v_mul_f64_e32 v[70:71], s[44:45], v[225:226]
	v_add_f64_e32 v[14:15], v[30:31], v[14:15]
	v_fma_f64 v[30:31], v[183:184], s[18:19], -v[72:73]
	v_add_f64_e32 v[44:45], v[169:170], v[44:45]
	v_mul_f64_e32 v[124:125], s[42:43], v[225:226]
	v_add_f64_e32 v[16:17], v[52:53], v[16:17]
	v_add_f64_e32 v[34:35], v[34:35], v[36:37]
	v_mov_b32_e32 v116, v86
	v_add_f64_e32 v[18:19], v[56:57], v[18:19]
	v_add_f64_e32 v[50:51], v[187:188], v[50:51]
	v_fma_f64 v[36:37], v[183:184], s[24:25], -v[148:149]
	v_fma_f64 v[56:57], v[171:172], s[10:11], -v[140:141]
	;; [unrolled: 1-line block ×3, first 2 shown]
	v_add_f64_e32 v[38:39], v[114:115], v[38:39]
	v_add_f64_e32 v[54:55], v[118:119], v[54:55]
	v_dual_mov_b32 v118, v251 :: v_dual_mov_b32 v119, v252
	v_add_f64_e32 v[42:43], v[104:105], v[42:43]
	v_dual_mov_b32 v104, v181 :: v_dual_mov_b32 v105, v182
	v_mul_f64_e32 v[114:115], s[28:29], v[116:117]
	v_add_f64_e32 v[24:25], v[24:25], v[26:27]
	v_fma_f64 v[26:27], v[175:176], s[24:25], -v[112:113]
	v_dual_mov_b32 v112, v181 :: v_dual_mov_b32 v113, v182
	v_mul_f64_e32 v[80:81], s[30:31], v[82:83]
	v_fma_f64 v[72:73], v[171:172], s[2:3], -v[64:65]
	v_fma_f64 v[12:13], v[171:172], s[2:3], v[64:65]
	v_mul_f64_e32 v[64:65], s[28:29], v[104:105]
	v_fma_f64 v[116:117], v[171:172], s[16:17], -v[120:121]
	v_mul_f64_e32 v[118:119], s[22:23], v[118:119]
	v_add_f64_e32 v[60:61], v[74:75], v[60:61]
	v_fma_f64 v[74:75], v[164:165], s[14:15], -v[62:63]
	v_add_f64_e32 v[10:11], v[48:49], v[10:11]
	v_fma_f64 v[48:49], v[164:165], s[14:15], v[62:63]
	v_fma_f64 v[68:69], v[179:180], s[18:19], -v[70:71]
	v_fma_f64 v[58:59], v[179:180], s[18:19], v[70:71]
	v_mul_f64_e32 v[70:71], s[34:35], v[82:83]
	v_fma_f64 v[82:83], v[171:172], s[24:25], -v[76:77]
	v_add_f64_e32 v[20:21], v[30:31], v[20:21]
	v_fma_f64 v[30:31], v[171:172], s[24:25], v[76:77]
	v_mul_f64_e32 v[76:77], s[26:27], v[104:105]
	v_mul_f64_e32 v[104:105], s[26:27], v[106:107]
	v_fma_f64 v[52:53], v[179:180], s[24:25], v[124:125]
	v_add_f64_e32 v[16:17], v[32:33], v[16:17]
	v_fma_f64 v[126:127], v[179:180], s[24:25], -v[124:125]
	v_fma_f64 v[124:125], v[175:176], s[16:17], v[122:123]
	v_fma_f64 v[32:33], v[171:172], s[16:17], v[120:121]
	v_add_f64_e32 v[120:121], v[142:143], v[134:135]
	v_add_f64_e32 v[18:19], v[46:47], v[18:19]
	v_fma_f64 v[46:47], v[164:165], s[16:17], -v[136:137]
	v_add_f64_e32 v[62:63], v[156:157], v[247:248]
	v_add_f64_e32 v[50:51], v[144:145], v[50:51]
	v_add_f64_e32 v[28:29], v[36:37], v[28:29]
	v_fma_f64 v[36:37], v[166:167], s[16:17], -v[219:220]
	v_add_f64_e32 v[42:43], v[100:101], v[42:43]
	v_mul_f64_e32 v[112:113], s[22:23], v[112:113]
	v_add_f64_e32 v[8:9], v[56:57], v[8:9]
	v_add_f64_e32 v[54:55], v[108:109], v[54:55]
	v_fma_f64 v[56:57], v[166:167], s[16:17], v[219:220]
	v_fma_f64 v[171:172], v[160:161], s[18:19], v[132:133]
	v_add_f64_e32 v[108:109], v[235:236], v[233:234]
	v_add_f64_e32 v[100:101], v[229:230], v[185:186]
	v_fma_f64 v[181:182], v[160:161], s[10:11], v[64:65]
	v_fma_f64 v[136:137], v[162:163], s[0:1], v[118:119]
	v_fma_f64 v[156:157], v[162:163], s[0:1], -v[118:119]
	v_add_f64_e32 v[118:119], v[249:250], v[152:153]
	v_or_b32_e32 v250, 0xe0, v255
	v_or_b32_e32 v249, 0x100, v255
	v_add_f64_e32 v[22:23], v[68:69], v[22:23]
	v_fma_f64 v[68:69], v[175:176], s[2:3], v[66:67]
	v_add_f64_e32 v[14:15], v[58:59], v[14:15]
	v_fma_f64 v[58:59], v[175:176], s[2:3], -v[66:67]
	v_mul_f64_e32 v[66:67], s[28:29], v[106:107]
	v_fma_f64 v[106:107], v[164:165], s[20:21], -v[78:79]
	v_add_f64_e32 v[38:39], v[82:83], v[38:39]
	v_fma_f64 v[191:192], v[162:163], s[2:3], v[104:105]
	v_fma_f64 v[169:170], v[162:163], s[2:3], -v[104:105]
	v_add_f64_e32 v[34:35], v[52:53], v[34:35]
	v_fma_f64 v[52:53], v[175:176], s[16:17], -v[122:123]
	v_fma_f64 v[122:123], v[164:165], s[10:11], -v[110:111]
	v_add_f64_e32 v[16:17], v[26:27], v[16:17]
	v_fma_f64 v[26:27], v[164:165], s[10:11], v[110:111]
	v_add_f64_e32 v[44:45], v[126:127], v[44:45]
	v_fma_f64 v[126:127], v[166:167], s[10:11], v[114:115]
	v_fma_f64 v[82:83], v[166:167], s[20:21], v[80:81]
	v_add_f64_e32 v[50:51], v[124:125], v[50:51]
	v_add_f64_e32 v[24:25], v[30:31], v[24:25]
	v_fma_f64 v[30:31], v[166:167], s[20:21], -v[80:81]
	v_add_f64_e32 v[42:43], v[96:97], v[42:43]
	v_add_f64_e32 v[96:97], v[2:3], v[241:242]
	;; [unrolled: 1-line block ×3, first 2 shown]
	v_fma_f64 v[18:19], v[160:161], s[18:19], -v[132:133]
	v_add_f64_e32 v[8:9], v[46:47], v[8:9]
	v_fma_f64 v[46:47], v[160:161], s[2:3], -v[76:77]
	v_add_f64_e32 v[175:176], v[128:129], v[130:131]
	v_fma_f64 v[36:37], v[160:161], s[10:11], -v[64:65]
	v_fma_f64 v[124:125], v[162:163], s[18:19], v[217:218]
	v_add_f64_e32 v[189:190], v[56:57], v[10:11]
	v_add_f64_e32 v[2:3], v[195:196], v[40:41]
	;; [unrolled: 1-line block ×3, first 2 shown]
	v_fma_f64 v[72:73], v[166:167], s[14:15], v[70:71]
	v_add_f64_e32 v[60:61], v[68:69], v[60:61]
	v_add_f64_e32 v[12:13], v[12:13], v[14:15]
	v_fma_f64 v[14:15], v[166:167], s[14:15], -v[70:71]
	v_add_f64_e32 v[20:21], v[58:59], v[20:21]
	v_add_f64_e32 v[38:39], v[106:107], v[38:39]
	v_fma_f64 v[58:59], v[164:165], s[20:21], v[78:79]
	v_fma_f64 v[68:69], v[160:161], s[0:1], -v[112:113]
	v_add_f64_e32 v[32:33], v[32:33], v[34:35]
	v_fma_f64 v[34:35], v[166:167], s[10:11], -v[114:115]
	v_add_f64_e32 v[28:29], v[52:53], v[28:29]
	v_fma_f64 v[128:129], v[162:163], s[10:11], v[66:67]
	v_fma_f64 v[52:53], v[160:161], s[16:17], -v[154:155]
	v_add_f64_e32 v[44:45], v[116:117], v[44:45]
	v_fma_f64 v[116:117], v[162:163], s[16:17], v[138:139]
	v_add_f64_e32 v[54:55], v[82:83], v[54:55]
	v_add_f64_e32 v[132:133], v[126:127], v[50:51]
	v_fma_f64 v[140:141], v[162:163], s[10:11], -v[66:67]
	v_fma_f64 v[164:165], v[160:161], s[2:3], v[76:77]
	v_add_f64_e32 v[144:145], v[30:31], v[16:17]
	v_fma_f64 v[160:161], v[160:161], s[0:1], v[112:113]
	v_add_f64_e32 v[112:113], v[223:224], v[0:1]
	v_add_f64_e32 v[0:1], v[193:194], v[42:43]
	;; [unrolled: 1-line block ×29, first 2 shown]
	s_wait_loadcnt 0x0
	v_add_f64_e32 v[106:107], v[6:7], v[4:5]
	s_clause 0x1
	scratch_load_b64 v[4:5], off, off offset:420 th:TH_LOAD_LU
	scratch_load_b64 v[6:7], off, off offset:444 th:TH_LOAD_LU
	s_wait_loadcnt 0x0
	v_add_f64_e32 v[104:105], v[4:5], v[6:7]
	s_clause 0x3
	scratch_load_b64 v[4:5], off, off offset:428 th:TH_LOAD_LU
	scratch_load_b32 v246, off, off offset:360
	scratch_load_b32 v245, off, off offset:356
	;; [unrolled: 1-line block ×3, first 2 shown]
	s_wait_loadcnt 0x3
	v_add_f64_e32 v[110:111], v[4:5], v[253:254]
	s_clause 0x1
	scratch_load_b64 v[4:5], off, off offset:396 th:TH_LOAD_LU
	scratch_load_b64 v[6:7], off, off offset:404 th:TH_LOAD_LU
	s_wait_loadcnt 0x0
	v_add_f64_e32 v[116:117], v[4:5], v[6:7]
	s_clause 0x1
	scratch_load_b64 v[4:5], off, off offset:372 th:TH_LOAD_LU
	scratch_load_b64 v[6:7], off, off offset:412 th:TH_LOAD_LU
	;; [unrolled: 5-line block ×3, first 2 shown]
	s_wait_loadcnt 0x0
	v_add_f64_e32 v[150:151], v[4:5], v[6:7]
	scratch_load_b32 v5, off, off offset:368 th:TH_LOAD_LU ; 4-byte Folded Reload
	v_mul_lo_u16 v4, v255, 17
	s_delay_alu instid0(VALU_DEP_1) | instskip(SKIP_1) | instid1(VALU_DEP_1)
	v_and_b32_e32 v4, 0xffff, v4
	s_wait_loadcnt 0x0
	v_lshl_add_u32 v4, v4, 4, v5
	ds_store_b128 v4, v[0:3]
	ds_store_b128 v4, v[136:139] offset:16
	ds_store_b128 v4, v[132:135] offset:32
	;; [unrolled: 1-line block ×16, first 2 shown]
.LBB0_13:
	s_or_b32 exec_lo, exec_lo, s33
	global_wb scope:SCOPE_SE
	s_wait_storecnt_dscnt 0x0
	s_barrier_signal -1
	s_barrier_wait -1
	global_inv scope:SCOPE_SE
	ds_load_b128 v[0:3], v177 offset:4352
	ds_load_b128 v[96:99], v177 offset:4896
	;; [unrolled: 1-line block ×8, first 2 shown]
	s_clause 0x7
	scratch_load_b128 v[38:41], off, off offset:16 th:TH_LOAD_LU
	scratch_load_b128 v[42:45], off, off th:TH_LOAD_LU
	scratch_load_b128 v[46:49], off, off offset:64 th:TH_LOAD_LU
	scratch_load_b128 v[50:53], off, off offset:80 th:TH_LOAD_LU
	;; [unrolled: 1-line block ×6, first 2 shown]
	s_mov_b32 s0, 0x667f3bcd
	s_mov_b32 s1, 0xbfe6a09e
	s_mov_b32 s3, 0x3fe6a09e
	s_wait_alu 0xfffe
	s_mov_b32 s2, s0
	s_mov_b32 s14, 0xa6aea964
	s_mov_b32 s15, 0x3fd87de2
	s_mov_b32 s17, 0xbfd87de2
	s_wait_alu 0xfffe
	s_mov_b32 s16, s14
	;; [unrolled: 5-line block ×3, first 2 shown]
	s_wait_loadcnt_dscnt 0x707
	v_mul_f64_e32 v[4:5], v[40:41], v[2:3]
	v_mul_f64_e32 v[6:7], v[40:41], v[0:1]
	s_wait_loadcnt_dscnt 0x606
	v_mul_f64_e32 v[8:9], v[44:45], v[98:99]
	v_mul_f64_e32 v[10:11], v[44:45], v[96:97]
	;; [unrolled: 3-line block ×8, first 2 shown]
	v_fma_f64 v[36:37], v[38:39], v[0:1], v[4:5]
	v_fma_f64 v[38:39], v[38:39], v[2:3], -v[6:7]
	v_fma_f64 v[40:41], v[42:43], v[96:97], v[8:9]
	v_fma_f64 v[42:43], v[42:43], v[98:99], -v[10:11]
	;; [unrolled: 2-line block ×7, first 2 shown]
	ds_load_b128 v[0:3], v177
	ds_load_b128 v[4:7], v177 offset:544
	ds_load_b128 v[8:11], v177 offset:1088
	;; [unrolled: 1-line block ×7, first 2 shown]
	v_fma_f64 v[64:65], v[66:67], v[120:121], v[32:33]
	v_fma_f64 v[66:67], v[66:67], v[122:123], -v[34:35]
	global_wb scope:SCOPE_SE
	s_wait_dscnt 0x0
	s_barrier_signal -1
	s_barrier_wait -1
	global_inv scope:SCOPE_SE
	v_add_f64_e64 v[32:33], v[0:1], -v[36:37]
	v_add_f64_e64 v[34:35], v[2:3], -v[38:39]
	;; [unrolled: 1-line block ×16, first 2 shown]
	v_fma_f64 v[0:1], v[0:1], 2.0, -v[32:33]
	v_fma_f64 v[2:3], v[2:3], 2.0, -v[34:35]
	;; [unrolled: 1-line block ×14, first 2 shown]
	ds_store_b128 v245, v[0:3]
	ds_store_b128 v245, v[32:35] offset:272
	scratch_load_b32 v0, off, off offset:328 th:TH_LOAD_LU ; 4-byte Folded Reload
	v_fma_f64 v[28:29], v[28:29], 2.0, -v[120:121]
	v_fma_f64 v[30:31], v[30:31], 2.0, -v[122:123]
	s_wait_loadcnt 0x0
	ds_store_b128 v0, v[4:7]
	ds_store_b128 v0, v[96:99] offset:272
	scratch_load_b32 v0, off, off offset:324 th:TH_LOAD_LU ; 4-byte Folded Reload
	s_wait_loadcnt 0x0
	ds_store_b128 v0, v[8:11]
	ds_store_b128 v0, v[100:103] offset:272
	scratch_load_b32 v0, off, off offset:320 th:TH_LOAD_LU ; 4-byte Folded Reload
	s_wait_loadcnt 0x0
	ds_store_b128 v0, v[12:15]
	ds_store_b128 v0, v[104:107] offset:272
	ds_store_b128 v246, v[16:19]
	ds_store_b128 v246, v[108:111] offset:272
	;; [unrolled: 2-line block ×5, first 2 shown]
	global_wb scope:SCOPE_SE
	s_wait_dscnt 0x0
	s_barrier_signal -1
	s_barrier_wait -1
	global_inv scope:SCOPE_SE
	ds_load_b128 v[0:3], v177 offset:544
	ds_load_b128 v[4:7], v177 offset:1088
	;; [unrolled: 1-line block ×15, first 2 shown]
	s_clause 0x7
	scratch_load_b128 v[152:155], off, off offset:240 th:TH_LOAD_LU
	scratch_load_b128 v[148:151], off, off offset:224 th:TH_LOAD_LU
	;; [unrolled: 1-line block ×8, first 2 shown]
	s_wait_dscnt 0x4
	v_mul_f64_e32 v[120:121], v[90:91], v[102:103]
	v_mul_f64_e32 v[90:91], v[90:91], v[100:101]
	s_wait_loadcnt 0x7
	v_mul_f64_e32 v[52:53], v[154:155], v[18:19]
	v_mul_f64_e32 v[54:55], v[154:155], v[16:17]
	scratch_load_b128 v[154:157], off, off offset:256 th:TH_LOAD_LU ; 16-byte Folded Reload
	s_wait_loadcnt 0x6
	v_mul_f64_e32 v[36:37], v[140:141], v[2:3]
	v_mul_f64_e32 v[38:39], v[140:141], v[0:1]
	scratch_load_b128 v[140:143], off, off offset:192 th:TH_LOAD_LU ; 16-byte Folded Reload
	s_wait_loadcnt 0x6
	v_mul_f64_e32 v[40:41], v[136:137], v[6:7]
	v_mul_f64_e32 v[42:43], v[136:137], v[4:5]
	s_wait_loadcnt 0x5
	v_mul_f64_e32 v[44:45], v[132:133], v[10:11]
	v_mul_f64_e32 v[46:47], v[132:133], v[8:9]
	;; [unrolled: 3-line block ×3, first 2 shown]
	v_mul_f64_e32 v[56:57], v[150:151], v[22:23]
	v_mul_f64_e32 v[58:59], v[150:151], v[20:21]
	s_wait_loadcnt 0x3
	v_mul_f64_e32 v[60:61], v[146:147], v[26:27]
	v_mul_f64_e32 v[62:63], v[146:147], v[24:25]
	s_wait_loadcnt_dscnt 0x201
	v_mul_f64_e32 v[76:77], v[86:87], v[114:115]
	v_mul_f64_e32 v[78:79], v[86:87], v[112:113]
	;; [unrolled: 1-line block ×4, first 2 shown]
	v_fma_f64 v[16:17], v[152:153], v[16:17], v[52:53]
	v_fma_f64 v[18:19], v[152:153], v[18:19], -v[54:55]
	v_fma_f64 v[36:37], v[138:139], v[0:1], v[36:37]
	v_fma_f64 v[38:39], v[138:139], v[2:3], -v[38:39]
	ds_load_b128 v[0:3], v177
	v_fma_f64 v[4:5], v[134:135], v[4:5], v[40:41]
	v_fma_f64 v[6:7], v[134:135], v[6:7], -v[42:43]
	v_fma_f64 v[8:9], v[130:131], v[8:9], v[44:45]
	v_fma_f64 v[10:11], v[130:131], v[10:11], -v[46:47]
	;; [unrolled: 2-line block ×8, first 2 shown]
	v_add_f64_e64 v[56:57], v[8:9], -v[56:57]
	v_add_f64_e64 v[58:59], v[10:11], -v[58:59]
	;; [unrolled: 1-line block ×6, first 2 shown]
	v_fma_f64 v[8:9], v[8:9], 2.0, -v[56:57]
	v_fma_f64 v[10:11], v[10:11], 2.0, -v[58:59]
	;; [unrolled: 1-line block ×6, first 2 shown]
	s_wait_loadcnt 0x1
	v_mul_f64_e32 v[68:69], v[156:157], v[106:107]
	v_mul_f64_e32 v[70:71], v[156:157], v[104:105]
	scratch_load_b128 v[156:159], off, off offset:272 th:TH_LOAD_LU ; 16-byte Folded Reload
	s_wait_loadcnt 0x1
	v_mul_f64_e32 v[64:65], v[142:143], v[30:31]
	v_mul_f64_e32 v[66:67], v[142:143], v[28:29]
	v_fma_f64 v[40:41], v[154:155], v[104:105], v[68:69]
	v_fma_f64 v[42:43], v[154:155], v[106:107], -v[70:71]
	s_delay_alu instid0(VALU_DEP_4) | instskip(NEXT) | instid1(VALU_DEP_4)
	v_fma_f64 v[28:29], v[140:141], v[28:29], v[64:65]
	v_fma_f64 v[30:31], v[140:141], v[30:31], -v[66:67]
	s_delay_alu instid0(VALU_DEP_4) | instskip(NEXT) | instid1(VALU_DEP_4)
	v_add_f64_e64 v[40:41], v[12:13], -v[40:41]
	v_add_f64_e64 v[42:43], v[14:15], -v[42:43]
	s_wait_dscnt 0x0
	s_delay_alu instid0(VALU_DEP_4) | instskip(NEXT) | instid1(VALU_DEP_4)
	v_add_f64_e64 v[28:29], v[0:1], -v[28:29]
	v_add_f64_e64 v[30:31], v[2:3], -v[30:31]
	s_delay_alu instid0(VALU_DEP_4) | instskip(NEXT) | instid1(VALU_DEP_4)
	v_fma_f64 v[12:13], v[12:13], 2.0, -v[40:41]
	v_fma_f64 v[14:15], v[14:15], 2.0, -v[42:43]
	s_delay_alu instid0(VALU_DEP_4) | instskip(NEXT) | instid1(VALU_DEP_4)
	v_add_f64_e32 v[64:65], v[28:29], v[42:43]
	v_add_f64_e64 v[66:67], v[30:31], -v[40:41]
	v_fma_f64 v[0:1], v[0:1], 2.0, -v[28:29]
	v_fma_f64 v[2:3], v[2:3], 2.0, -v[30:31]
	s_delay_alu instid0(VALU_DEP_4) | instskip(NEXT) | instid1(VALU_DEP_4)
	v_fma_f64 v[28:29], v[28:29], 2.0, -v[64:65]
	v_fma_f64 v[30:31], v[30:31], 2.0, -v[66:67]
	s_delay_alu instid0(VALU_DEP_4) | instskip(NEXT) | instid1(VALU_DEP_4)
	v_add_f64_e64 v[12:13], v[0:1], -v[12:13]
	v_add_f64_e64 v[14:15], v[2:3], -v[14:15]
	s_delay_alu instid0(VALU_DEP_2) | instskip(NEXT) | instid1(VALU_DEP_2)
	v_fma_f64 v[0:1], v[0:1], 2.0, -v[12:13]
	v_fma_f64 v[2:3], v[2:3], 2.0, -v[14:15]
	s_wait_loadcnt 0x0
	v_mul_f64_e32 v[72:73], v[158:159], v[98:99]
	v_mul_f64_e32 v[74:75], v[158:159], v[96:97]
	scratch_load_b128 v[158:161], off, off offset:288 th:TH_LOAD_LU ; 16-byte Folded Reload
	v_fma_f64 v[44:45], v[156:157], v[96:97], v[72:73]
	v_fma_f64 v[46:47], v[156:157], v[98:99], -v[74:75]
	s_delay_alu instid0(VALU_DEP_2) | instskip(NEXT) | instid1(VALU_DEP_2)
	v_add_f64_e64 v[44:45], v[4:5], -v[44:45]
	v_add_f64_e64 v[46:47], v[6:7], -v[46:47]
	s_delay_alu instid0(VALU_DEP_2) | instskip(NEXT) | instid1(VALU_DEP_2)
	v_add_f64_e32 v[68:69], v[44:45], v[50:51]
	v_add_f64_e64 v[70:71], v[46:47], -v[48:49]
	v_fma_f64 v[4:5], v[4:5], 2.0, -v[44:45]
	v_fma_f64 v[6:7], v[6:7], 2.0, -v[46:47]
	s_delay_alu instid0(VALU_DEP_4) | instskip(NEXT) | instid1(VALU_DEP_4)
	v_fma_f64 v[40:41], v[44:45], 2.0, -v[68:69]
	v_fma_f64 v[42:43], v[46:47], 2.0, -v[70:71]
	s_delay_alu instid0(VALU_DEP_4) | instskip(NEXT) | instid1(VALU_DEP_4)
	v_add_f64_e64 v[20:21], v[4:5], -v[20:21]
	v_add_f64_e64 v[22:23], v[6:7], -v[22:23]
	v_fma_f64 v[48:49], v[68:69], s[2:3], v[64:65]
	v_fma_f64 v[50:51], v[70:71], s[2:3], v[66:67]
	s_delay_alu instid0(VALU_DEP_4) | instskip(NEXT) | instid1(VALU_DEP_4)
	v_fma_f64 v[4:5], v[4:5], 2.0, -v[20:21]
	v_fma_f64 v[6:7], v[6:7], 2.0, -v[22:23]
	s_delay_alu instid0(VALU_DEP_4) | instskip(NEXT) | instid1(VALU_DEP_4)
	v_fma_f64 v[70:71], v[70:71], s[2:3], v[48:49]
	v_fma_f64 v[68:69], v[68:69], s[0:1], v[50:51]
	s_wait_loadcnt 0x0
	v_mul_f64_e32 v[80:81], v[160:161], v[34:35]
	v_mul_f64_e32 v[82:83], v[160:161], v[32:33]
	scratch_load_b128 v[160:163], off, off offset:304 th:TH_LOAD_LU ; 16-byte Folded Reload
	v_fma_f64 v[32:33], v[158:159], v[32:33], v[80:81]
	v_fma_f64 v[34:35], v[158:159], v[34:35], -v[82:83]
	s_delay_alu instid0(VALU_DEP_2) | instskip(NEXT) | instid1(VALU_DEP_2)
	v_add_f64_e64 v[32:33], v[36:37], -v[32:33]
	v_add_f64_e64 v[34:35], v[38:39], -v[34:35]
	s_delay_alu instid0(VALU_DEP_2) | instskip(NEXT) | instid1(VALU_DEP_2)
	v_add_f64_e32 v[72:73], v[32:33], v[54:55]
	v_add_f64_e64 v[74:75], v[34:35], -v[52:53]
	v_fma_f64 v[36:37], v[36:37], 2.0, -v[32:33]
	v_fma_f64 v[38:39], v[38:39], 2.0, -v[34:35]
	s_delay_alu instid0(VALU_DEP_4) | instskip(NEXT) | instid1(VALU_DEP_4)
	v_fma_f64 v[32:33], v[32:33], 2.0, -v[72:73]
	v_fma_f64 v[34:35], v[34:35], 2.0, -v[74:75]
	s_delay_alu instid0(VALU_DEP_4) | instskip(NEXT) | instid1(VALU_DEP_4)
	v_add_f64_e64 v[16:17], v[36:37], -v[16:17]
	v_add_f64_e64 v[18:19], v[38:39], -v[18:19]
	s_delay_alu instid0(VALU_DEP_2) | instskip(NEXT) | instid1(VALU_DEP_2)
	v_fma_f64 v[36:37], v[36:37], 2.0, -v[16:17]
	v_fma_f64 v[38:39], v[38:39], 2.0, -v[18:19]
	s_wait_loadcnt 0x0
	v_mul_f64_e32 v[122:123], v[162:163], v[116:117]
	v_mul_f64_e32 v[124:125], v[162:163], v[118:119]
	s_delay_alu instid0(VALU_DEP_2) | instskip(NEXT) | instid1(VALU_DEP_2)
	v_fma_f64 v[60:61], v[160:161], v[118:119], -v[122:123]
	v_fma_f64 v[62:63], v[160:161], v[116:117], v[124:125]
	s_delay_alu instid0(VALU_DEP_2) | instskip(NEXT) | instid1(VALU_DEP_2)
	v_add_f64_e64 v[60:61], v[26:27], -v[60:61]
	v_add_f64_e64 v[62:63], v[24:25], -v[62:63]
	s_delay_alu instid0(VALU_DEP_2) | instskip(NEXT) | instid1(VALU_DEP_2)
	v_add_f64_e32 v[76:77], v[56:57], v[60:61]
	v_add_f64_e64 v[78:79], v[58:59], -v[62:63]
	v_fma_f64 v[24:25], v[24:25], 2.0, -v[62:63]
	v_fma_f64 v[26:27], v[26:27], 2.0, -v[60:61]
	s_delay_alu instid0(VALU_DEP_4) | instskip(NEXT) | instid1(VALU_DEP_4)
	v_fma_f64 v[44:45], v[56:57], 2.0, -v[76:77]
	v_fma_f64 v[46:47], v[58:59], 2.0, -v[78:79]
	s_delay_alu instid0(VALU_DEP_4) | instskip(NEXT) | instid1(VALU_DEP_4)
	v_add_f64_e64 v[24:25], v[8:9], -v[24:25]
	v_add_f64_e64 v[26:27], v[10:11], -v[26:27]
	v_fma_f64 v[52:53], v[76:77], s[2:3], v[72:73]
	v_fma_f64 v[54:55], v[78:79], s[2:3], v[74:75]
	;; [unrolled: 1-line block ×6, first 2 shown]
	v_fma_f64 v[8:9], v[8:9], 2.0, -v[24:25]
	v_fma_f64 v[10:11], v[10:11], 2.0, -v[26:27]
	v_fma_f64 v[48:49], v[78:79], s[2:3], v[52:53]
	v_fma_f64 v[50:51], v[76:77], s[0:1], v[54:55]
	v_add_f64_e32 v[52:53], v[12:13], v[22:23]
	v_add_f64_e64 v[54:55], v[14:15], -v[20:21]
	v_add_f64_e32 v[20:21], v[16:17], v[26:27]
	v_fma_f64 v[56:57], v[42:43], s[2:3], v[56:57]
	v_fma_f64 v[58:59], v[40:41], s[0:1], v[58:59]
	v_add_f64_e64 v[24:25], v[18:19], -v[24:25]
	v_add_f64_e64 v[40:41], v[0:1], -v[4:5]
	;; [unrolled: 1-line block ×3, first 2 shown]
	v_fma_f64 v[22:23], v[46:47], s[2:3], v[60:61]
	v_fma_f64 v[26:27], v[44:45], s[0:1], v[62:63]
	v_add_f64_e64 v[4:5], v[36:37], -v[8:9]
	v_add_f64_e64 v[6:7], v[38:39], -v[10:11]
	v_fma_f64 v[44:45], v[64:65], 2.0, -v[70:71]
	v_fma_f64 v[46:47], v[66:67], 2.0, -v[68:69]
	;; [unrolled: 1-line block ×9, first 2 shown]
	v_fma_f64 v[8:9], v[20:21], s[2:3], v[52:53]
	v_fma_f64 v[10:11], v[24:25], s[2:3], v[54:55]
	v_fma_f64 v[78:79], v[0:1], 2.0, -v[40:41]
	v_fma_f64 v[80:81], v[2:3], 2.0, -v[42:43]
	s_wait_alu 0xfffe
	v_fma_f64 v[82:83], v[50:51], s[18:19], v[68:69]
	v_fma_f64 v[30:31], v[32:33], 2.0, -v[22:23]
	v_fma_f64 v[28:29], v[34:35], 2.0, -v[26:27]
	;; [unrolled: 1-line block ×5, first 2 shown]
	v_fma_f64 v[34:35], v[22:23], s[14:15], v[56:57]
	v_fma_f64 v[16:17], v[60:61], s[16:17], v[44:45]
	;; [unrolled: 1-line block ×5, first 2 shown]
	v_add_f64_e32 v[0:1], v[40:41], v[6:7]
	v_add_f64_e64 v[2:3], v[42:43], -v[4:5]
	v_fma_f64 v[84:85], v[72:73], s[0:1], v[64:65]
	v_fma_f64 v[4:5], v[24:25], s[2:3], v[8:9]
	;; [unrolled: 1-line block ×6, first 2 shown]
	v_add_f64_e64 v[8:9], v[78:79], -v[12:13]
	v_add_f64_e64 v[10:11], v[80:81], -v[14:15]
	v_fma_f64 v[12:13], v[62:63], s[18:19], v[16:17]
	v_fma_f64 v[14:15], v[60:61], s[10:11], v[18:19]
	;; [unrolled: 1-line block ×7, first 2 shown]
	v_fma_f64 v[32:33], v[40:41], 2.0, -v[0:1]
	v_fma_f64 v[34:35], v[42:43], 2.0, -v[2:3]
	;; [unrolled: 1-line block ×4, first 2 shown]
	v_fma_f64 v[28:29], v[28:29], s[14:15], v[86:87]
	v_fma_f64 v[30:31], v[30:31], s[16:17], v[88:89]
	;; [unrolled: 1-line block ×3, first 2 shown]
	v_fma_f64 v[40:41], v[78:79], 2.0, -v[8:9]
	v_fma_f64 v[42:43], v[80:81], 2.0, -v[10:11]
	;; [unrolled: 1-line block ×12, first 2 shown]
	ds_store_b128 v178, v[40:43]
	ds_store_b128 v174, v[44:47] offset:1632
	ds_store_b128 v174, v[32:35] offset:2176
	;; [unrolled: 1-line block ×15, first 2 shown]
	global_wb scope:SCOPE_SE
	s_wait_dscnt 0x0
	s_barrier_signal -1
	s_barrier_wait -1
	global_inv scope:SCOPE_SE
	s_and_b32 exec_lo, exec_lo, vcc_lo
	s_cbranch_execz .LBB0_15
; %bb.14:
	global_load_b128 v[0:3], v173, s[8:9]
	ds_load_b128 v[4:7], v240
	s_mov_b32 s0, 0x1e1e1e1e
	s_mov_b32 s1, 0x3f5e1e1e
	s_wait_loadcnt_dscnt 0x0
	v_mul_f64_e32 v[8:9], v[6:7], v[2:3]
	v_mul_f64_e32 v[2:3], v[4:5], v[2:3]
	s_delay_alu instid0(VALU_DEP_2) | instskip(NEXT) | instid1(VALU_DEP_2)
	v_fma_f64 v[4:5], v[4:5], v[0:1], v[8:9]
	v_fma_f64 v[0:1], v[0:1], v[6:7], -v[2:3]
	v_mad_co_u64_u32 v[6:7], null, s6, v239, 0
	v_mad_co_u64_u32 v[8:9], null, s4, v255, 0
	s_wait_alu 0xfffe
	s_delay_alu instid0(VALU_DEP_4) | instskip(NEXT) | instid1(VALU_DEP_4)
	v_mul_f64_e32 v[2:3], s[0:1], v[4:5]
	v_mul_f64_e32 v[4:5], s[0:1], v[0:1]
	s_delay_alu instid0(VALU_DEP_3) | instskip(NEXT) | instid1(VALU_DEP_1)
	v_dual_mov_b32 v0, v7 :: v_dual_mov_b32 v1, v9
	v_mad_co_u64_u32 v[9:10], null, s7, v239, v[0:1]
	s_delay_alu instid0(VALU_DEP_1) | instskip(SKIP_1) | instid1(VALU_DEP_1)
	v_mov_b32_e32 v7, v9
	v_mad_co_u64_u32 v[0:1], null, s5, v255, v[1:2]
	v_mov_b32_e32 v9, v0
	s_delay_alu instid0(VALU_DEP_3) | instskip(NEXT) | instid1(VALU_DEP_2)
	v_lshlrev_b64_e32 v[0:1], 4, v[6:7]
	v_lshlrev_b64_e32 v[6:7], 4, v[8:9]
	s_delay_alu instid0(VALU_DEP_2) | instskip(NEXT) | instid1(VALU_DEP_3)
	v_add_co_u32 v0, vcc_lo, s12, v0
	v_add_co_ci_u32_e32 v1, vcc_lo, s13, v1, vcc_lo
	s_delay_alu instid0(VALU_DEP_2) | instskip(SKIP_1) | instid1(VALU_DEP_2)
	v_add_co_u32 v6, vcc_lo, v0, v6
	s_wait_alu 0xfffd
	v_add_co_ci_u32_e32 v7, vcc_lo, v1, v7, vcc_lo
	global_store_b128 v[6:7], v[2:5], off
	global_load_b128 v[2:5], v173, s[8:9] offset:512
	ds_load_b128 v[6:9], v174 offset:512
	ds_load_b128 v[10:13], v174 offset:1024
	s_wait_loadcnt_dscnt 0x1
	v_mul_f64_e32 v[14:15], v[8:9], v[4:5]
	v_mul_f64_e32 v[4:5], v[6:7], v[4:5]
	s_delay_alu instid0(VALU_DEP_2) | instskip(NEXT) | instid1(VALU_DEP_2)
	v_fma_f64 v[6:7], v[6:7], v[2:3], v[14:15]
	v_fma_f64 v[4:5], v[2:3], v[8:9], -v[4:5]
	v_or_b32_e32 v14, 32, v255
	s_delay_alu instid0(VALU_DEP_1) | instskip(NEXT) | instid1(VALU_DEP_4)
	v_mad_co_u64_u32 v[8:9], null, s4, v14, 0
	v_mul_f64_e32 v[2:3], s[0:1], v[6:7]
	s_delay_alu instid0(VALU_DEP_2) | instskip(SKIP_1) | instid1(VALU_DEP_2)
	v_mov_b32_e32 v6, v9
	v_mul_f64_e32 v[4:5], s[0:1], v[4:5]
	v_mad_co_u64_u32 v[6:7], null, s5, v14, v[6:7]
	s_delay_alu instid0(VALU_DEP_1) | instskip(NEXT) | instid1(VALU_DEP_1)
	v_mov_b32_e32 v9, v6
	v_lshlrev_b64_e32 v[6:7], 4, v[8:9]
	s_delay_alu instid0(VALU_DEP_1) | instskip(SKIP_1) | instid1(VALU_DEP_2)
	v_add_co_u32 v6, vcc_lo, v0, v6
	s_wait_alu 0xfffd
	v_add_co_ci_u32_e32 v7, vcc_lo, v1, v7, vcc_lo
	global_store_b128 v[6:7], v[2:5], off
	global_load_b128 v[2:5], v173, s[8:9] offset:1024
	s_wait_loadcnt_dscnt 0x0
	v_mul_f64_e32 v[6:7], v[12:13], v[4:5]
	v_mul_f64_e32 v[4:5], v[10:11], v[4:5]
	s_delay_alu instid0(VALU_DEP_2) | instskip(NEXT) | instid1(VALU_DEP_2)
	v_fma_f64 v[6:7], v[10:11], v[2:3], v[6:7]
	v_fma_f64 v[4:5], v[2:3], v[12:13], -v[4:5]
	v_or_b32_e32 v10, 64, v255
	s_delay_alu instid0(VALU_DEP_1) | instskip(NEXT) | instid1(VALU_DEP_4)
	v_mad_co_u64_u32 v[8:9], null, s4, v10, 0
	v_mul_f64_e32 v[2:3], s[0:1], v[6:7]
	s_delay_alu instid0(VALU_DEP_4) | instskip(NEXT) | instid1(VALU_DEP_3)
	v_mul_f64_e32 v[4:5], s[0:1], v[4:5]
	v_mov_b32_e32 v6, v9
	s_delay_alu instid0(VALU_DEP_1) | instskip(NEXT) | instid1(VALU_DEP_1)
	v_mad_co_u64_u32 v[6:7], null, s5, v10, v[6:7]
	v_mov_b32_e32 v9, v6
	s_delay_alu instid0(VALU_DEP_1) | instskip(NEXT) | instid1(VALU_DEP_1)
	v_lshlrev_b64_e32 v[6:7], 4, v[8:9]
	v_add_co_u32 v6, vcc_lo, v0, v6
	s_wait_alu 0xfffd
	s_delay_alu instid0(VALU_DEP_2)
	v_add_co_ci_u32_e32 v7, vcc_lo, v1, v7, vcc_lo
	global_store_b128 v[6:7], v[2:5], off
	global_load_b128 v[2:5], v173, s[8:9] offset:1536
	ds_load_b128 v[6:9], v174 offset:1536
	ds_load_b128 v[10:13], v174 offset:2048
	s_wait_loadcnt_dscnt 0x1
	v_mul_f64_e32 v[14:15], v[8:9], v[4:5]
	v_mul_f64_e32 v[4:5], v[6:7], v[4:5]
	s_delay_alu instid0(VALU_DEP_2) | instskip(NEXT) | instid1(VALU_DEP_2)
	v_fma_f64 v[6:7], v[6:7], v[2:3], v[14:15]
	v_fma_f64 v[4:5], v[2:3], v[8:9], -v[4:5]
	v_or_b32_e32 v14, 0x60, v255
	s_delay_alu instid0(VALU_DEP_1) | instskip(NEXT) | instid1(VALU_DEP_4)
	v_mad_co_u64_u32 v[8:9], null, s4, v14, 0
	v_mul_f64_e32 v[2:3], s[0:1], v[6:7]
	s_delay_alu instid0(VALU_DEP_4) | instskip(NEXT) | instid1(VALU_DEP_3)
	v_mul_f64_e32 v[4:5], s[0:1], v[4:5]
	v_mov_b32_e32 v6, v9
	s_delay_alu instid0(VALU_DEP_1) | instskip(NEXT) | instid1(VALU_DEP_1)
	v_mad_co_u64_u32 v[6:7], null, s5, v14, v[6:7]
	v_mov_b32_e32 v9, v6
	s_delay_alu instid0(VALU_DEP_1) | instskip(NEXT) | instid1(VALU_DEP_1)
	v_lshlrev_b64_e32 v[6:7], 4, v[8:9]
	v_add_co_u32 v6, vcc_lo, v0, v6
	s_wait_alu 0xfffd
	s_delay_alu instid0(VALU_DEP_2)
	v_add_co_ci_u32_e32 v7, vcc_lo, v1, v7, vcc_lo
	global_store_b128 v[6:7], v[2:5], off
	global_load_b128 v[2:5], v173, s[8:9] offset:2048
	s_wait_loadcnt_dscnt 0x0
	v_mul_f64_e32 v[6:7], v[12:13], v[4:5]
	v_mul_f64_e32 v[4:5], v[10:11], v[4:5]
	s_delay_alu instid0(VALU_DEP_2) | instskip(NEXT) | instid1(VALU_DEP_2)
	v_fma_f64 v[6:7], v[10:11], v[2:3], v[6:7]
	v_fma_f64 v[4:5], v[2:3], v[12:13], -v[4:5]
	v_or_b32_e32 v10, 0x80, v255
	s_delay_alu instid0(VALU_DEP_1) | instskip(NEXT) | instid1(VALU_DEP_4)
	v_mad_co_u64_u32 v[8:9], null, s4, v10, 0
	v_mul_f64_e32 v[2:3], s[0:1], v[6:7]
	s_delay_alu instid0(VALU_DEP_4) | instskip(NEXT) | instid1(VALU_DEP_3)
	v_mul_f64_e32 v[4:5], s[0:1], v[4:5]
	v_mov_b32_e32 v6, v9
	s_delay_alu instid0(VALU_DEP_1) | instskip(NEXT) | instid1(VALU_DEP_1)
	v_mad_co_u64_u32 v[6:7], null, s5, v10, v[6:7]
	v_mov_b32_e32 v9, v6
	s_delay_alu instid0(VALU_DEP_1) | instskip(NEXT) | instid1(VALU_DEP_1)
	v_lshlrev_b64_e32 v[6:7], 4, v[8:9]
	v_add_co_u32 v6, vcc_lo, v0, v6
	s_wait_alu 0xfffd
	s_delay_alu instid0(VALU_DEP_2)
	v_add_co_ci_u32_e32 v7, vcc_lo, v1, v7, vcc_lo
	global_store_b128 v[6:7], v[2:5], off
	global_load_b128 v[2:5], v173, s[8:9] offset:2560
	ds_load_b128 v[6:9], v174 offset:2560
	ds_load_b128 v[10:13], v174 offset:3072
	s_wait_loadcnt_dscnt 0x1
	v_mul_f64_e32 v[14:15], v[8:9], v[4:5]
	v_mul_f64_e32 v[4:5], v[6:7], v[4:5]
	s_delay_alu instid0(VALU_DEP_2) | instskip(NEXT) | instid1(VALU_DEP_2)
	v_fma_f64 v[6:7], v[6:7], v[2:3], v[14:15]
	v_fma_f64 v[4:5], v[2:3], v[8:9], -v[4:5]
	v_or_b32_e32 v14, 0xa0, v255
	s_delay_alu instid0(VALU_DEP_1) | instskip(NEXT) | instid1(VALU_DEP_4)
	v_mad_co_u64_u32 v[8:9], null, s4, v14, 0
	v_mul_f64_e32 v[2:3], s[0:1], v[6:7]
	s_delay_alu instid0(VALU_DEP_4) | instskip(NEXT) | instid1(VALU_DEP_3)
	v_mul_f64_e32 v[4:5], s[0:1], v[4:5]
	v_mov_b32_e32 v6, v9
	s_delay_alu instid0(VALU_DEP_1) | instskip(NEXT) | instid1(VALU_DEP_1)
	v_mad_co_u64_u32 v[6:7], null, s5, v14, v[6:7]
	v_mov_b32_e32 v9, v6
	s_delay_alu instid0(VALU_DEP_1) | instskip(NEXT) | instid1(VALU_DEP_1)
	v_lshlrev_b64_e32 v[6:7], 4, v[8:9]
	v_add_co_u32 v6, vcc_lo, v0, v6
	s_wait_alu 0xfffd
	s_delay_alu instid0(VALU_DEP_2)
	v_add_co_ci_u32_e32 v7, vcc_lo, v1, v7, vcc_lo
	global_store_b128 v[6:7], v[2:5], off
	global_load_b128 v[2:5], v173, s[8:9] offset:3072
	s_wait_loadcnt_dscnt 0x0
	v_mul_f64_e32 v[6:7], v[12:13], v[4:5]
	v_mul_f64_e32 v[4:5], v[10:11], v[4:5]
	s_delay_alu instid0(VALU_DEP_2) | instskip(NEXT) | instid1(VALU_DEP_2)
	v_fma_f64 v[6:7], v[10:11], v[2:3], v[6:7]
	v_fma_f64 v[4:5], v[2:3], v[12:13], -v[4:5]
	v_or_b32_e32 v10, 0xc0, v255
	s_delay_alu instid0(VALU_DEP_1) | instskip(NEXT) | instid1(VALU_DEP_4)
	v_mad_co_u64_u32 v[8:9], null, s4, v10, 0
	v_mul_f64_e32 v[2:3], s[0:1], v[6:7]
	s_delay_alu instid0(VALU_DEP_4) | instskip(NEXT) | instid1(VALU_DEP_3)
	v_mul_f64_e32 v[4:5], s[0:1], v[4:5]
	v_mov_b32_e32 v6, v9
	s_delay_alu instid0(VALU_DEP_1) | instskip(NEXT) | instid1(VALU_DEP_1)
	v_mad_co_u64_u32 v[6:7], null, s5, v10, v[6:7]
	v_mov_b32_e32 v9, v6
	s_delay_alu instid0(VALU_DEP_1) | instskip(NEXT) | instid1(VALU_DEP_1)
	v_lshlrev_b64_e32 v[6:7], 4, v[8:9]
	v_add_co_u32 v6, vcc_lo, v0, v6
	s_wait_alu 0xfffd
	s_delay_alu instid0(VALU_DEP_2)
	v_add_co_ci_u32_e32 v7, vcc_lo, v1, v7, vcc_lo
	global_store_b128 v[6:7], v[2:5], off
	global_load_b128 v[2:5], v173, s[8:9] offset:3584
	ds_load_b128 v[6:9], v174 offset:3584
	ds_load_b128 v[10:13], v174 offset:4096
	s_wait_loadcnt_dscnt 0x1
	v_mul_f64_e32 v[14:15], v[8:9], v[4:5]
	v_mul_f64_e32 v[4:5], v[6:7], v[4:5]
	s_delay_alu instid0(VALU_DEP_2) | instskip(NEXT) | instid1(VALU_DEP_2)
	v_fma_f64 v[6:7], v[6:7], v[2:3], v[14:15]
	v_fma_f64 v[4:5], v[2:3], v[8:9], -v[4:5]
	v_mad_co_u64_u32 v[8:9], null, s4, v250, 0
	s_delay_alu instid0(VALU_DEP_3) | instskip(NEXT) | instid1(VALU_DEP_3)
	v_mul_f64_e32 v[2:3], s[0:1], v[6:7]
	v_mul_f64_e32 v[4:5], s[0:1], v[4:5]
	s_delay_alu instid0(VALU_DEP_3) | instskip(NEXT) | instid1(VALU_DEP_1)
	v_mov_b32_e32 v6, v9
	v_mad_co_u64_u32 v[6:7], null, s5, v250, v[6:7]
	s_delay_alu instid0(VALU_DEP_1) | instskip(NEXT) | instid1(VALU_DEP_1)
	v_mov_b32_e32 v9, v6
	v_lshlrev_b64_e32 v[6:7], 4, v[8:9]
	v_mad_co_u64_u32 v[8:9], null, s4, v249, 0
	s_delay_alu instid0(VALU_DEP_2) | instskip(SKIP_1) | instid1(VALU_DEP_3)
	v_add_co_u32 v6, vcc_lo, v0, v6
	s_wait_alu 0xfffd
	v_add_co_ci_u32_e32 v7, vcc_lo, v1, v7, vcc_lo
	global_store_b128 v[6:7], v[2:5], off
	global_load_b128 v[2:5], v173, s[8:9] offset:4096
	s_wait_loadcnt_dscnt 0x0
	v_mul_f64_e32 v[6:7], v[12:13], v[4:5]
	v_mul_f64_e32 v[4:5], v[10:11], v[4:5]
	s_delay_alu instid0(VALU_DEP_2) | instskip(NEXT) | instid1(VALU_DEP_2)
	v_fma_f64 v[6:7], v[10:11], v[2:3], v[6:7]
	v_fma_f64 v[4:5], v[2:3], v[12:13], -v[4:5]
	s_delay_alu instid0(VALU_DEP_2) | instskip(NEXT) | instid1(VALU_DEP_2)
	v_mul_f64_e32 v[2:3], s[0:1], v[6:7]
	v_mul_f64_e32 v[4:5], s[0:1], v[4:5]
	v_mov_b32_e32 v6, v9
	s_delay_alu instid0(VALU_DEP_1) | instskip(NEXT) | instid1(VALU_DEP_1)
	v_mad_co_u64_u32 v[6:7], null, s5, v249, v[6:7]
	v_mov_b32_e32 v9, v6
	s_delay_alu instid0(VALU_DEP_1) | instskip(NEXT) | instid1(VALU_DEP_1)
	v_lshlrev_b64_e32 v[6:7], 4, v[8:9]
	v_add_co_u32 v6, vcc_lo, v0, v6
	s_wait_alu 0xfffd
	s_delay_alu instid0(VALU_DEP_2)
	v_add_co_ci_u32_e32 v7, vcc_lo, v1, v7, vcc_lo
	global_store_b128 v[6:7], v[2:5], off
	global_load_b128 v[2:5], v173, s[8:9] offset:4608
	ds_load_b128 v[6:9], v174 offset:4608
	ds_load_b128 v[10:13], v174 offset:5120
	s_wait_loadcnt_dscnt 0x1
	v_mul_f64_e32 v[14:15], v[8:9], v[4:5]
	v_mul_f64_e32 v[4:5], v[6:7], v[4:5]
	s_delay_alu instid0(VALU_DEP_2) | instskip(NEXT) | instid1(VALU_DEP_2)
	v_fma_f64 v[6:7], v[6:7], v[2:3], v[14:15]
	v_fma_f64 v[4:5], v[2:3], v[8:9], -v[4:5]
	v_or_b32_e32 v14, 0x120, v255
	s_delay_alu instid0(VALU_DEP_1) | instskip(NEXT) | instid1(VALU_DEP_4)
	v_mad_co_u64_u32 v[8:9], null, s4, v14, 0
	v_mul_f64_e32 v[2:3], s[0:1], v[6:7]
	s_delay_alu instid0(VALU_DEP_4) | instskip(NEXT) | instid1(VALU_DEP_3)
	v_mul_f64_e32 v[4:5], s[0:1], v[4:5]
	v_mov_b32_e32 v6, v9
	s_delay_alu instid0(VALU_DEP_1) | instskip(NEXT) | instid1(VALU_DEP_1)
	v_mad_co_u64_u32 v[6:7], null, s5, v14, v[6:7]
	v_mov_b32_e32 v9, v6
	s_delay_alu instid0(VALU_DEP_1) | instskip(SKIP_1) | instid1(VALU_DEP_2)
	v_lshlrev_b64_e32 v[6:7], 4, v[8:9]
	v_mad_co_u64_u32 v[8:9], null, s4, v168, 0
	v_add_co_u32 v6, vcc_lo, v0, v6
	s_wait_alu 0xfffd
	s_delay_alu instid0(VALU_DEP_3)
	v_add_co_ci_u32_e32 v7, vcc_lo, v1, v7, vcc_lo
	global_store_b128 v[6:7], v[2:5], off
	global_load_b128 v[2:5], v173, s[8:9] offset:5120
	s_wait_loadcnt_dscnt 0x0
	v_mul_f64_e32 v[6:7], v[12:13], v[4:5]
	v_mul_f64_e32 v[4:5], v[10:11], v[4:5]
	s_delay_alu instid0(VALU_DEP_2) | instskip(NEXT) | instid1(VALU_DEP_2)
	v_fma_f64 v[6:7], v[10:11], v[2:3], v[6:7]
	v_fma_f64 v[4:5], v[2:3], v[12:13], -v[4:5]
	s_delay_alu instid0(VALU_DEP_2) | instskip(NEXT) | instid1(VALU_DEP_2)
	v_mul_f64_e32 v[2:3], s[0:1], v[6:7]
	v_mul_f64_e32 v[4:5], s[0:1], v[4:5]
	v_mov_b32_e32 v6, v9
	s_delay_alu instid0(VALU_DEP_1) | instskip(NEXT) | instid1(VALU_DEP_1)
	v_mad_co_u64_u32 v[6:7], null, s5, v168, v[6:7]
	v_mov_b32_e32 v9, v6
	s_delay_alu instid0(VALU_DEP_1) | instskip(NEXT) | instid1(VALU_DEP_1)
	v_lshlrev_b64_e32 v[6:7], 4, v[8:9]
	v_add_co_u32 v6, vcc_lo, v0, v6
	s_wait_alu 0xfffd
	s_delay_alu instid0(VALU_DEP_2)
	v_add_co_ci_u32_e32 v7, vcc_lo, v1, v7, vcc_lo
	global_store_b128 v[6:7], v[2:5], off
	global_load_b128 v[2:5], v173, s[8:9] offset:5632
	ds_load_b128 v[6:9], v174 offset:5632
	ds_load_b128 v[10:13], v174 offset:6144
	s_wait_loadcnt_dscnt 0x1
	v_mul_f64_e32 v[14:15], v[8:9], v[4:5]
	v_mul_f64_e32 v[4:5], v[6:7], v[4:5]
	s_delay_alu instid0(VALU_DEP_2) | instskip(NEXT) | instid1(VALU_DEP_2)
	v_fma_f64 v[6:7], v[6:7], v[2:3], v[14:15]
	v_fma_f64 v[4:5], v[2:3], v[8:9], -v[4:5]
	v_or_b32_e32 v14, 0x160, v255
	s_delay_alu instid0(VALU_DEP_1) | instskip(NEXT) | instid1(VALU_DEP_4)
	v_mad_co_u64_u32 v[8:9], null, s4, v14, 0
	v_mul_f64_e32 v[2:3], s[0:1], v[6:7]
	s_delay_alu instid0(VALU_DEP_4) | instskip(NEXT) | instid1(VALU_DEP_3)
	v_mul_f64_e32 v[4:5], s[0:1], v[4:5]
	v_mov_b32_e32 v6, v9
	s_delay_alu instid0(VALU_DEP_1) | instskip(NEXT) | instid1(VALU_DEP_1)
	v_mad_co_u64_u32 v[6:7], null, s5, v14, v[6:7]
	v_mov_b32_e32 v9, v6
	s_delay_alu instid0(VALU_DEP_1) | instskip(NEXT) | instid1(VALU_DEP_1)
	v_lshlrev_b64_e32 v[6:7], 4, v[8:9]
	v_add_co_u32 v6, vcc_lo, v0, v6
	s_wait_alu 0xfffd
	s_delay_alu instid0(VALU_DEP_2)
	v_add_co_ci_u32_e32 v7, vcc_lo, v1, v7, vcc_lo
	global_store_b128 v[6:7], v[2:5], off
	global_load_b128 v[2:5], v173, s[8:9] offset:6144
	s_wait_loadcnt_dscnt 0x0
	v_mul_f64_e32 v[6:7], v[12:13], v[4:5]
	v_mul_f64_e32 v[4:5], v[10:11], v[4:5]
	s_delay_alu instid0(VALU_DEP_2) | instskip(NEXT) | instid1(VALU_DEP_2)
	v_fma_f64 v[6:7], v[10:11], v[2:3], v[6:7]
	v_fma_f64 v[4:5], v[2:3], v[12:13], -v[4:5]
	v_or_b32_e32 v10, 0x180, v255
	s_delay_alu instid0(VALU_DEP_1) | instskip(NEXT) | instid1(VALU_DEP_4)
	v_mad_co_u64_u32 v[8:9], null, s4, v10, 0
	v_mul_f64_e32 v[2:3], s[0:1], v[6:7]
	s_delay_alu instid0(VALU_DEP_4) | instskip(NEXT) | instid1(VALU_DEP_3)
	v_mul_f64_e32 v[4:5], s[0:1], v[4:5]
	v_mov_b32_e32 v6, v9
	s_delay_alu instid0(VALU_DEP_1) | instskip(NEXT) | instid1(VALU_DEP_1)
	v_mad_co_u64_u32 v[6:7], null, s5, v10, v[6:7]
	v_mov_b32_e32 v9, v6
	s_delay_alu instid0(VALU_DEP_1) | instskip(NEXT) | instid1(VALU_DEP_1)
	v_lshlrev_b64_e32 v[6:7], 4, v[8:9]
	v_add_co_u32 v6, vcc_lo, v0, v6
	s_wait_alu 0xfffd
	s_delay_alu instid0(VALU_DEP_2)
	v_add_co_ci_u32_e32 v7, vcc_lo, v1, v7, vcc_lo
	global_store_b128 v[6:7], v[2:5], off
	global_load_b128 v[2:5], v173, s[8:9] offset:6656
	ds_load_b128 v[6:9], v174 offset:6656
	ds_load_b128 v[10:13], v174 offset:7168
	s_wait_loadcnt_dscnt 0x1
	v_mul_f64_e32 v[14:15], v[8:9], v[4:5]
	v_mul_f64_e32 v[4:5], v[6:7], v[4:5]
	s_delay_alu instid0(VALU_DEP_2) | instskip(NEXT) | instid1(VALU_DEP_2)
	v_fma_f64 v[6:7], v[6:7], v[2:3], v[14:15]
	v_fma_f64 v[4:5], v[2:3], v[8:9], -v[4:5]
	v_or_b32_e32 v14, 0x1a0, v255
	s_delay_alu instid0(VALU_DEP_1) | instskip(NEXT) | instid1(VALU_DEP_4)
	v_mad_co_u64_u32 v[8:9], null, s4, v14, 0
	v_mul_f64_e32 v[2:3], s[0:1], v[6:7]
	s_delay_alu instid0(VALU_DEP_4) | instskip(NEXT) | instid1(VALU_DEP_3)
	v_mul_f64_e32 v[4:5], s[0:1], v[4:5]
	v_mov_b32_e32 v6, v9
	s_delay_alu instid0(VALU_DEP_1) | instskip(NEXT) | instid1(VALU_DEP_1)
	v_mad_co_u64_u32 v[6:7], null, s5, v14, v[6:7]
	v_mov_b32_e32 v9, v6
	s_delay_alu instid0(VALU_DEP_1) | instskip(NEXT) | instid1(VALU_DEP_1)
	v_lshlrev_b64_e32 v[6:7], 4, v[8:9]
	v_add_co_u32 v6, vcc_lo, v0, v6
	s_wait_alu 0xfffd
	s_delay_alu instid0(VALU_DEP_2)
	v_add_co_ci_u32_e32 v7, vcc_lo, v1, v7, vcc_lo
	global_store_b128 v[6:7], v[2:5], off
	global_load_b128 v[2:5], v173, s[8:9] offset:7168
	s_wait_loadcnt_dscnt 0x0
	v_mul_f64_e32 v[6:7], v[12:13], v[4:5]
	v_mul_f64_e32 v[4:5], v[10:11], v[4:5]
	s_delay_alu instid0(VALU_DEP_2) | instskip(NEXT) | instid1(VALU_DEP_2)
	v_fma_f64 v[6:7], v[10:11], v[2:3], v[6:7]
	v_fma_f64 v[4:5], v[2:3], v[12:13], -v[4:5]
	v_or_b32_e32 v10, 0x1c0, v255
	s_delay_alu instid0(VALU_DEP_1) | instskip(NEXT) | instid1(VALU_DEP_4)
	v_mad_co_u64_u32 v[8:9], null, s4, v10, 0
	v_mul_f64_e32 v[2:3], s[0:1], v[6:7]
	s_delay_alu instid0(VALU_DEP_4) | instskip(NEXT) | instid1(VALU_DEP_3)
	;; [unrolled: 50-line block ×3, first 2 shown]
	v_mul_f64_e32 v[4:5], s[0:1], v[4:5]
	v_mov_b32_e32 v6, v9
                                        ; kill: def $vgpr7 killed $sgpr0 killed $exec
	s_delay_alu instid0(VALU_DEP_1) | instskip(NEXT) | instid1(VALU_DEP_1)
	v_mad_co_u64_u32 v[6:7], null, s5, v10, v[6:7]
	v_mov_b32_e32 v9, v6
	s_delay_alu instid0(VALU_DEP_1) | instskip(NEXT) | instid1(VALU_DEP_1)
	v_lshlrev_b64_e32 v[6:7], 4, v[8:9]
	v_add_co_u32 v0, vcc_lo, v0, v6
	s_wait_alu 0xfffd
	s_delay_alu instid0(VALU_DEP_2)
	v_add_co_ci_u32_e32 v1, vcc_lo, v1, v7, vcc_lo
	global_store_b128 v[0:1], v[2:5], off
.LBB0_15:
	s_nop 0
	s_sendmsg sendmsg(MSG_DEALLOC_VGPRS)
	s_endpgm
	.section	.rodata,"a",@progbits
	.p2align	6, 0x0
	.amdhsa_kernel bluestein_single_back_len544_dim1_dp_op_CI_CI
		.amdhsa_group_segment_fixed_size 26112
		.amdhsa_private_segment_fixed_size 472
		.amdhsa_kernarg_size 104
		.amdhsa_user_sgpr_count 2
		.amdhsa_user_sgpr_dispatch_ptr 0
		.amdhsa_user_sgpr_queue_ptr 0
		.amdhsa_user_sgpr_kernarg_segment_ptr 1
		.amdhsa_user_sgpr_dispatch_id 0
		.amdhsa_user_sgpr_private_segment_size 0
		.amdhsa_wavefront_size32 1
		.amdhsa_uses_dynamic_stack 0
		.amdhsa_enable_private_segment 1
		.amdhsa_system_sgpr_workgroup_id_x 1
		.amdhsa_system_sgpr_workgroup_id_y 0
		.amdhsa_system_sgpr_workgroup_id_z 0
		.amdhsa_system_sgpr_workgroup_info 0
		.amdhsa_system_vgpr_workitem_id 0
		.amdhsa_next_free_vgpr 256
		.amdhsa_next_free_sgpr 58
		.amdhsa_reserve_vcc 1
		.amdhsa_float_round_mode_32 0
		.amdhsa_float_round_mode_16_64 0
		.amdhsa_float_denorm_mode_32 3
		.amdhsa_float_denorm_mode_16_64 3
		.amdhsa_fp16_overflow 0
		.amdhsa_workgroup_processor_mode 1
		.amdhsa_memory_ordered 1
		.amdhsa_forward_progress 0
		.amdhsa_round_robin_scheduling 0
		.amdhsa_exception_fp_ieee_invalid_op 0
		.amdhsa_exception_fp_denorm_src 0
		.amdhsa_exception_fp_ieee_div_zero 0
		.amdhsa_exception_fp_ieee_overflow 0
		.amdhsa_exception_fp_ieee_underflow 0
		.amdhsa_exception_fp_ieee_inexact 0
		.amdhsa_exception_int_div_zero 0
	.end_amdhsa_kernel
	.text
.Lfunc_end0:
	.size	bluestein_single_back_len544_dim1_dp_op_CI_CI, .Lfunc_end0-bluestein_single_back_len544_dim1_dp_op_CI_CI
                                        ; -- End function
	.section	.AMDGPU.csdata,"",@progbits
; Kernel info:
; codeLenInByte = 23944
; NumSgprs: 60
; NumVgprs: 256
; ScratchSize: 472
; MemoryBound: 0
; FloatMode: 240
; IeeeMode: 1
; LDSByteSize: 26112 bytes/workgroup (compile time only)
; SGPRBlocks: 7
; VGPRBlocks: 31
; NumSGPRsForWavesPerEU: 60
; NumVGPRsForWavesPerEU: 256
; Occupancy: 5
; WaveLimiterHint : 1
; COMPUTE_PGM_RSRC2:SCRATCH_EN: 1
; COMPUTE_PGM_RSRC2:USER_SGPR: 2
; COMPUTE_PGM_RSRC2:TRAP_HANDLER: 0
; COMPUTE_PGM_RSRC2:TGID_X_EN: 1
; COMPUTE_PGM_RSRC2:TGID_Y_EN: 0
; COMPUTE_PGM_RSRC2:TGID_Z_EN: 0
; COMPUTE_PGM_RSRC2:TIDIG_COMP_CNT: 0
	.text
	.p2alignl 7, 3214868480
	.fill 96, 4, 3214868480
	.type	__hip_cuid_778c8a5411bd233e,@object ; @__hip_cuid_778c8a5411bd233e
	.section	.bss,"aw",@nobits
	.globl	__hip_cuid_778c8a5411bd233e
__hip_cuid_778c8a5411bd233e:
	.byte	0                               ; 0x0
	.size	__hip_cuid_778c8a5411bd233e, 1

	.ident	"AMD clang version 19.0.0git (https://github.com/RadeonOpenCompute/llvm-project roc-6.4.0 25133 c7fe45cf4b819c5991fe208aaa96edf142730f1d)"
	.section	".note.GNU-stack","",@progbits
	.addrsig
	.addrsig_sym __hip_cuid_778c8a5411bd233e
	.amdgpu_metadata
---
amdhsa.kernels:
  - .args:
      - .actual_access:  read_only
        .address_space:  global
        .offset:         0
        .size:           8
        .value_kind:     global_buffer
      - .actual_access:  read_only
        .address_space:  global
        .offset:         8
        .size:           8
        .value_kind:     global_buffer
      - .actual_access:  read_only
        .address_space:  global
        .offset:         16
        .size:           8
        .value_kind:     global_buffer
      - .actual_access:  read_only
        .address_space:  global
        .offset:         24
        .size:           8
        .value_kind:     global_buffer
      - .actual_access:  read_only
        .address_space:  global
        .offset:         32
        .size:           8
        .value_kind:     global_buffer
      - .offset:         40
        .size:           8
        .value_kind:     by_value
      - .address_space:  global
        .offset:         48
        .size:           8
        .value_kind:     global_buffer
      - .address_space:  global
        .offset:         56
        .size:           8
        .value_kind:     global_buffer
      - .address_space:  global
        .offset:         64
        .size:           8
        .value_kind:     global_buffer
      - .address_space:  global
        .offset:         72
        .size:           8
        .value_kind:     global_buffer
      - .offset:         80
        .size:           4
        .value_kind:     by_value
      - .address_space:  global
        .offset:         88
        .size:           8
        .value_kind:     global_buffer
      - .address_space:  global
        .offset:         96
        .size:           8
        .value_kind:     global_buffer
    .group_segment_fixed_size: 26112
    .kernarg_segment_align: 8
    .kernarg_segment_size: 104
    .language:       OpenCL C
    .language_version:
      - 2
      - 0
    .max_flat_workgroup_size: 102
    .name:           bluestein_single_back_len544_dim1_dp_op_CI_CI
    .private_segment_fixed_size: 472
    .sgpr_count:     60
    .sgpr_spill_count: 0
    .symbol:         bluestein_single_back_len544_dim1_dp_op_CI_CI.kd
    .uniform_work_group_size: 1
    .uses_dynamic_stack: false
    .vgpr_count:     256
    .vgpr_spill_count: 127
    .wavefront_size: 32
    .workgroup_processor_mode: 1
amdhsa.target:   amdgcn-amd-amdhsa--gfx1201
amdhsa.version:
  - 1
  - 2
...

	.end_amdgpu_metadata
